;; amdgpu-corpus repo=ROCm/rocFFT kind=compiled arch=gfx950 opt=O3
	.text
	.amdgcn_target "amdgcn-amd-amdhsa--gfx950"
	.amdhsa_code_object_version 6
	.protected	bluestein_single_fwd_len1452_dim1_sp_op_CI_CI ; -- Begin function bluestein_single_fwd_len1452_dim1_sp_op_CI_CI
	.globl	bluestein_single_fwd_len1452_dim1_sp_op_CI_CI
	.p2align	8
	.type	bluestein_single_fwd_len1452_dim1_sp_op_CI_CI,@function
bluestein_single_fwd_len1452_dim1_sp_op_CI_CI: ; @bluestein_single_fwd_len1452_dim1_sp_op_CI_CI
; %bb.0:
	s_load_dwordx4 s[12:15], s[0:1], 0x28
	v_mul_u32_u24_e32 v1, 0x1f1, v0
	v_mov_b32_e32 v69, 0
	v_add_u32_sdwa v76, s2, v1 dst_sel:DWORD dst_unused:UNUSED_PAD src0_sel:DWORD src1_sel:WORD_1
	v_mov_b32_e32 v77, v69
	s_waitcnt lgkmcnt(0)
	v_cmp_gt_u64_e32 vcc, s[12:13], v[76:77]
	s_and_saveexec_b64 s[2:3], vcc
	s_cbranch_execz .LBB0_18
; %bb.1:
	s_load_dwordx4 s[4:7], s[0:1], 0x18
	s_load_dwordx4 s[8:11], s[0:1], 0x0
	v_mov_b32_e32 v2, s14
	v_mov_b32_e32 v3, s15
	s_movk_i32 s2, 0x84
	s_waitcnt lgkmcnt(0)
	s_load_dwordx4 s[12:15], s[4:5], 0x0
	v_mul_lo_u16_sdwa v1, v1, s2 dst_sel:DWORD dst_unused:UNUSED_PAD src0_sel:WORD_1 src1_sel:DWORD
	v_sub_u16_e32 v68, v0, v1
	v_mov_b32_e32 v24, 0x420
	v_lshlrev_b32_e32 v64, 3, v68
	s_waitcnt lgkmcnt(0)
	v_mad_u64_u32 v[0:1], s[2:3], s14, v76, 0
	v_mov_b32_e32 v4, v1
	v_mad_u64_u32 v[4:5], s[2:3], s15, v76, v[4:5]
	v_mov_b32_e32 v1, v4
	v_mad_u64_u32 v[4:5], s[2:3], s12, v68, 0
	v_mov_b32_e32 v6, v5
	v_mad_u64_u32 v[6:7], s[2:3], s13, v68, v[6:7]
	v_mov_b32_e32 v5, v6
	v_lshl_add_u64 v[0:1], v[0:1], 3, v[2:3]
	v_lshl_add_u64 v[0:1], v[4:5], 3, v[0:1]
	global_load_dwordx2 v[2:3], v[0:1], off
	v_mad_u64_u32 v[0:1], s[2:3], s12, v24, v[0:1]
	s_mul_i32 s4, s13, 0x420
	v_add_u32_e32 v1, s4, v1
	v_mad_u64_u32 v[6:7], s[2:3], s12, v24, v[0:1]
	v_add_u32_e32 v7, s4, v7
	v_mad_u64_u32 v[8:9], s[2:3], s12, v24, v[6:7]
	v_add_u32_e32 v9, s4, v9
	v_mov_b32_e32 v65, v69
	v_mad_u64_u32 v[10:11], s[2:3], s12, v24, v[8:9]
	v_lshl_add_u64 v[4:5], s[8:9], 0, v[64:65]
	v_add_u32_e32 v11, s4, v11
	s_movk_i32 s2, 0x1000
	global_load_dwordx2 v[90:91], v64, s[8:9]
	global_load_dwordx2 v[88:89], v64, s[8:9] offset:1056
	global_load_dwordx2 v[84:85], v64, s[8:9] offset:2112
	;; [unrolled: 1-line block ×3, first 2 shown]
	global_load_dwordx2 v[12:13], v[0:1], off
	global_load_dwordx2 v[14:15], v[6:7], off
	;; [unrolled: 1-line block ×4, first 2 shown]
	v_add_co_u32_e32 v0, vcc, s2, v4
	v_mad_u64_u32 v[6:7], s[2:3], s12, v24, v[10:11]
	v_add_u32_e32 v7, s4, v7
	global_load_dwordx2 v[8:9], v[6:7], off
	v_mad_u64_u32 v[6:7], s[2:3], s12, v24, v[6:7]
	v_addc_co_u32_e32 v1, vcc, 0, v5, vcc
	v_add_u32_e32 v7, s4, v7
	global_load_dwordx2 v[86:87], v[0:1], off offset:128
	global_load_dwordx2 v[10:11], v[6:7], off
	global_load_dwordx2 v[82:83], v[0:1], off offset:1184
	v_mad_u64_u32 v[6:7], s[2:3], s12, v24, v[6:7]
	v_add_u32_e32 v7, s4, v7
	global_load_dwordx2 v[20:21], v[6:7], off
	global_load_dwordx2 v[80:81], v[0:1], off offset:2240
	global_load_dwordx2 v[74:75], v[0:1], off offset:3296
	v_mad_u64_u32 v[0:1], s[2:3], s12, v24, v[6:7]
	v_add_u32_e32 v1, s4, v1
	s_movk_i32 s2, 0x2000
	global_load_dwordx2 v[6:7], v[0:1], off
	v_add_co_u32_e32 v4, vcc, s2, v4
	v_mad_u64_u32 v[0:1], s[2:3], s12, v24, v[0:1]
	s_nop 0
	v_addc_co_u32_e32 v5, vcc, 0, v5, vcc
	v_add_u32_e32 v1, s4, v1
	global_load_dwordx2 v[72:73], v[4:5], off offset:256
	global_load_dwordx2 v[22:23], v[0:1], off
	global_load_dwordx2 v[70:71], v[4:5], off offset:1312
	v_mad_u64_u32 v[0:1], s[2:3], s12, v24, v[0:1]
	v_add_u32_e32 v1, s4, v1
	global_load_dwordx2 v[66:67], v[4:5], off offset:2368
	global_load_dwordx2 v[24:25], v[0:1], off
	v_add_u32_e32 v65, 0x800, v64
	v_add_u32_e32 v124, 0x1000, v64
	;; [unrolled: 1-line block ×4, first 2 shown]
	s_load_dwordx4 s[4:7], s[6:7], 0x0
	s_mov_b32 s28, 0xbf68dda4
	s_mov_b32 s2, 0x3ed4b147
	;; [unrolled: 1-line block ×12, first 2 shown]
	s_waitcnt vmcnt(20)
	v_mul_f32_e32 v0, v3, v91
	v_mul_f32_e32 v1, v2, v91
	v_fmac_f32_e32 v0, v2, v90
	v_fma_f32 v1, v3, v90, -v1
	s_waitcnt vmcnt(16)
	v_mul_f32_e32 v2, v13, v89
	v_mul_f32_e32 v3, v12, v89
	v_fmac_f32_e32 v2, v12, v88
	v_fma_f32 v3, v13, v88, -v3
	ds_write2_b64 v64, v[0:1], v[2:3] offset1:132
	s_waitcnt vmcnt(15)
	v_mul_f32_e32 v0, v15, v85
	v_mul_f32_e32 v1, v14, v85
	s_waitcnt vmcnt(14)
	v_mul_f32_e32 v2, v17, v79
	v_mul_f32_e32 v3, v16, v79
	v_fmac_f32_e32 v0, v14, v84
	v_fma_f32 v1, v15, v84, -v1
	v_fmac_f32_e32 v2, v16, v78
	v_fma_f32 v3, v17, v78, -v3
	ds_write2_b64 v65, v[0:1], v[2:3] offset0:8 offset1:140
	s_waitcnt vmcnt(11)
	v_mul_f32_e32 v0, v19, v87
	v_mul_f32_e32 v1, v18, v87
	s_waitcnt vmcnt(9)
	v_mul_f32_e32 v2, v9, v83
	v_mul_f32_e32 v3, v8, v83
	v_fmac_f32_e32 v0, v18, v86
	v_fma_f32 v1, v19, v86, -v1
	v_fmac_f32_e32 v2, v8, v82
	v_fma_f32 v3, v9, v82, -v3
	ds_write2_b64 v124, v[0:1], v[2:3] offset0:16 offset1:148
	;; [unrolled: 11-line block ×4, first 2 shown]
	s_waitcnt vmcnt(0)
	v_mul_f32_e32 v0, v25, v67
	v_mul_f32_e32 v1, v24, v67
	v_fmac_f32_e32 v0, v24, v66
	v_fma_f32 v1, v25, v66, -v1
	ds_write_b64 v64, v[0:1] offset:10560
	s_waitcnt lgkmcnt(0)
	s_barrier
	ds_read2_b64 v[14:17], v65 offset0:8 offset1:140
	ds_read2_b64 v[18:21], v5 offset0:32 offset1:164
	ds_read2_b64 v[0:3], v64 offset1:132
	ds_read2_b64 v[22:25], v124 offset0:16 offset1:148
	ds_read2_b64 v[26:29], v4 offset0:24 offset1:156
	s_waitcnt lgkmcnt(3)
	v_pk_add_f32 v[8:9], v[18:19], v[16:17]
	s_waitcnt lgkmcnt(2)
	v_pk_add_f32 v[10:11], v[0:1], v[2:3]
	v_pk_add_f32 v[12:13], v[16:17], v[18:19] neg_lo:[0,1] neg_hi:[0,1]
	v_pk_add_f32 v[10:11], v[10:11], v[14:15]
	v_pk_add_f32 v[6:7], v[14:15], v[20:21] neg_lo:[0,1] neg_hi:[0,1]
	v_pk_add_f32 v[10:11], v[10:11], v[16:17]
	ds_read_b64 v[16:17], v64 offset:10560
	s_waitcnt lgkmcnt(2)
	v_pk_add_f32 v[10:11], v[10:11], v[22:23]
	v_pk_add_f32 v[4:5], v[20:21], v[14:15]
	;; [unrolled: 1-line block ×3, first 2 shown]
	v_pk_mul_f32 v[14:15], v[6:7], s[28:29] op_sel_hi:[1,0]
	s_waitcnt lgkmcnt(1)
	v_pk_add_f32 v[10:11], v[10:11], v[26:27]
	s_waitcnt lgkmcnt(0)
	v_pk_add_f32 v[34:35], v[2:3], v[16:17] neg_lo:[0,1] neg_hi:[0,1]
	v_pk_add_f32 v[10:11], v[10:11], v[28:29]
	v_pk_add_f32 v[30:31], v[28:29], v[22:23]
	;; [unrolled: 1-line block ×3, first 2 shown]
	v_pk_add_f32 v[32:33], v[22:23], v[28:29] neg_lo:[0,1] neg_hi:[0,1]
	v_pk_add_f32 v[18:19], v[10:11], v[20:21]
	v_pk_fma_f32 v[10:11], v[4:5], s[2:3], v[14:15] op_sel:[0,0,1] op_sel_hi:[1,0,0]
	v_pk_fma_f32 v[20:21], v[4:5], s[2:3], v[14:15] op_sel:[0,0,1] op_sel_hi:[1,0,0] neg_lo:[0,0,1] neg_hi:[0,0,1]
	v_pk_add_f32 v[28:29], v[16:17], v[2:3]
	v_pk_mul_f32 v[14:15], v[34:35], s[18:19] op_sel_hi:[1,0]
	v_pk_add_f32 v[22:23], v[26:27], v[24:25]
	v_pk_add_f32 v[24:25], v[24:25], v[26:27] neg_lo:[0,1] neg_hi:[0,1]
	v_pk_add_f32 v[26:27], v[18:19], v[16:17]
	v_pk_fma_f32 v[2:3], v[28:29], s[12:13], v[14:15] op_sel:[0,0,1] op_sel_hi:[1,0,0]
	v_pk_fma_f32 v[16:17], v[28:29], s[12:13], v[14:15] op_sel:[0,0,1] op_sel_hi:[1,0,0] neg_lo:[0,0,1] neg_hi:[0,0,1]
	v_mov_b32_e32 v15, v21
	v_mov_b32_e32 v21, v11
	;; [unrolled: 1-line block ×4, first 2 shown]
	v_pk_add_f32 v[16:17], v[0:1], v[16:17]
	v_pk_mul_f32 v[38:39], v[32:33], s[26:27] op_sel_hi:[1,0]
	v_pk_add_f32 v[20:21], v[20:21], v[16:17]
	v_pk_mul_f32 v[16:17], v[12:13], s[16:17] op_sel_hi:[1,0]
	v_mul_lo_u16_e32 v3, 11, v68
	v_pk_fma_f32 v[18:19], v[8:9], s[14:15], v[16:17] op_sel:[0,0,1] op_sel_hi:[1,0,0]
	v_pk_fma_f32 v[36:37], v[8:9], s[14:15], v[16:17] op_sel:[0,0,1] op_sel_hi:[1,0,0] neg_lo:[0,0,1] neg_hi:[0,0,1]
	v_lshlrev_b32_e32 v77, 3, v3
	v_mov_b32_e32 v17, v37
	v_mov_b32_e32 v37, v19
	v_pk_add_f32 v[36:37], v[36:37], v[20:21]
	v_pk_fma_f32 v[20:21], v[30:31], s[24:25], v[38:39] op_sel:[0,0,1] op_sel_hi:[1,0,0]
	v_pk_fma_f32 v[38:39], v[30:31], s[24:25], v[38:39] op_sel:[0,0,1] op_sel_hi:[1,0,0] neg_lo:[0,0,1] neg_hi:[0,0,1]
	s_nop 0
	v_mov_b32_e32 v19, v39
	v_mov_b32_e32 v39, v21
	v_pk_add_f32 v[36:37], v[38:39], v[36:37]
	v_pk_mul_f32 v[38:39], v[24:25], s[22:23] op_sel_hi:[1,0]
	s_barrier
	v_pk_fma_f32 v[40:41], v[22:23], s[20:21], v[38:39] op_sel:[0,0,1] op_sel_hi:[1,0,0]
	v_pk_fma_f32 v[38:39], v[22:23], s[20:21], v[38:39] op_sel:[0,0,1] op_sel_hi:[1,0,0] neg_lo:[0,0,1] neg_hi:[0,0,1]
	s_nop 0
	v_mov_b32_e32 v21, v39
	v_mov_b32_e32 v39, v41
	v_pk_add_f32 v[36:37], v[38:39], v[36:37]
	ds_write2_b64 v77, v[26:27], v[36:37] offset1:1
	v_pk_mul_f32 v[26:27], v[6:7], s[26:27] op_sel_hi:[1,0]
	v_pk_mul_f32 v[38:39], v[34:35], s[28:29] op_sel_hi:[1,0]
	v_pk_fma_f32 v[36:37], v[4:5], s[24:25], v[26:27] op_sel:[0,0,1] op_sel_hi:[1,0,0] neg_lo:[0,0,1] neg_hi:[0,0,1]
	v_pk_fma_f32 v[26:27], v[4:5], s[24:25], v[26:27] op_sel:[0,0,1] op_sel_hi:[1,0,0]
	v_pk_fma_f32 v[42:43], v[28:29], s[2:3], v[38:39] op_sel:[0,0,1] op_sel_hi:[1,0,0] neg_lo:[0,0,1] neg_hi:[0,0,1]
	v_pk_fma_f32 v[38:39], v[28:29], s[2:3], v[38:39] op_sel:[0,0,1] op_sel_hi:[1,0,0]
	v_mov_b32_e32 v45, v37
	v_mov_b32_e32 v37, v27
	;; [unrolled: 1-line block ×4, first 2 shown]
	v_pk_add_f32 v[42:43], v[0:1], v[42:43]
	s_mov_b32 s28, 0x3f0a6770
	v_pk_add_f32 v[36:37], v[36:37], v[42:43]
	v_pk_mul_f32 v[42:43], v[12:13], s[30:31] op_sel_hi:[1,0]
	v_pk_mul_f32 v[58:59], v[34:35], s[16:17] op_sel_hi:[1,0]
	v_pk_fma_f32 v[46:47], v[8:9], s[20:21], v[42:43] op_sel:[0,0,1] op_sel_hi:[1,0,0] neg_lo:[0,0,1] neg_hi:[0,0,1]
	v_pk_fma_f32 v[42:43], v[8:9], s[20:21], v[42:43] op_sel:[0,0,1] op_sel_hi:[1,0,0]
	v_mov_b32_e32 v49, v47
	v_mov_b32_e32 v47, v43
	v_pk_add_f32 v[36:37], v[46:47], v[36:37]
	v_pk_mul_f32 v[46:47], v[32:33], s[34:35] op_sel_hi:[1,0]
	v_pk_fma_f32 v[60:61], v[28:29], s[14:15], v[58:59] op_sel:[0,0,1] op_sel_hi:[1,0,0] neg_lo:[0,0,1] neg_hi:[0,0,1]
	v_pk_fma_f32 v[50:51], v[30:31], s[14:15], v[46:47] op_sel:[0,0,1] op_sel_hi:[1,0,0] neg_lo:[0,0,1] neg_hi:[0,0,1]
	v_pk_fma_f32 v[46:47], v[30:31], s[14:15], v[46:47] op_sel:[0,0,1] op_sel_hi:[1,0,0]
	v_mov_b32_e32 v43, v51
	v_mov_b32_e32 v51, v47
	v_pk_add_f32 v[36:37], v[50:51], v[36:37]
	v_pk_mul_f32 v[50:51], v[24:25], s[28:29] op_sel_hi:[1,0]
	v_pk_fma_f32 v[58:59], v[28:29], s[14:15], v[58:59] op_sel:[0,0,1] op_sel_hi:[1,0,0]
	v_pk_fma_f32 v[52:53], v[22:23], s[12:13], v[50:51] op_sel:[0,0,1] op_sel_hi:[1,0,0] neg_lo:[0,0,1] neg_hi:[0,0,1]
	v_pk_fma_f32 v[50:51], v[22:23], s[12:13], v[50:51] op_sel:[0,0,1] op_sel_hi:[1,0,0]
	v_mov_b32_e32 v41, v53
	v_mov_b32_e32 v53, v51
	v_pk_add_f32 v[36:37], v[52:53], v[36:37]
	v_pk_mul_f32 v[52:53], v[6:7], s[30:31] op_sel_hi:[1,0]
	v_mov_b32_e32 v62, v60
	v_pk_fma_f32 v[54:55], v[4:5], s[20:21], v[52:53] op_sel:[0,0,1] op_sel_hi:[1,0,0] neg_lo:[0,0,1] neg_hi:[0,0,1]
	v_pk_fma_f32 v[52:53], v[4:5], s[20:21], v[52:53] op_sel:[0,0,1] op_sel_hi:[1,0,0]
	v_mov_b32_e32 v63, v59
	v_mov_b32_e32 v56, v54
	;; [unrolled: 1-line block ×3, first 2 shown]
	v_pk_add_f32 v[62:63], v[0:1], v[62:63]
	s_mov_b32 s30, 0x3f68dda4
	v_pk_add_f32 v[56:57], v[56:57], v[62:63]
	v_pk_mul_f32 v[62:63], v[12:13], s[30:31] op_sel_hi:[1,0]
	v_pk_mul_f32 v[104:105], v[34:35], s[26:27] op_sel_hi:[1,0]
	v_pk_fma_f32 v[92:93], v[8:9], s[2:3], v[62:63] op_sel:[0,0,1] op_sel_hi:[1,0,0] neg_lo:[0,0,1] neg_hi:[0,0,1]
	v_pk_fma_f32 v[62:63], v[8:9], s[2:3], v[62:63] op_sel:[0,0,1] op_sel_hi:[1,0,0]
	v_mov_b32_e32 v94, v92
	v_mov_b32_e32 v95, v63
	v_pk_add_f32 v[56:57], v[94:95], v[56:57]
	v_pk_mul_f32 v[94:95], v[32:33], s[18:19] op_sel_hi:[1,0]
	v_pk_fma_f32 v[106:107], v[28:29], s[24:25], v[104:105] op_sel:[0,0,1] op_sel_hi:[1,0,0] neg_lo:[0,0,1] neg_hi:[0,0,1]
	v_pk_fma_f32 v[96:97], v[30:31], s[12:13], v[94:95] op_sel:[0,0,1] op_sel_hi:[1,0,0] neg_lo:[0,0,1] neg_hi:[0,0,1]
	v_pk_fma_f32 v[94:95], v[30:31], s[12:13], v[94:95] op_sel:[0,0,1] op_sel_hi:[1,0,0]
	v_mov_b32_e32 v98, v96
	v_mov_b32_e32 v99, v95
	v_pk_add_f32 v[56:57], v[98:99], v[56:57]
	v_pk_mul_f32 v[98:99], v[24:25], s[26:27] op_sel_hi:[1,0]
	v_pk_fma_f32 v[104:105], v[28:29], s[24:25], v[104:105] op_sel:[0,0,1] op_sel_hi:[1,0,0]
	v_pk_fma_f32 v[100:101], v[22:23], s[24:25], v[98:99] op_sel:[0,0,1] op_sel_hi:[1,0,0] neg_lo:[0,0,1] neg_hi:[0,0,1]
	v_pk_fma_f32 v[98:99], v[22:23], s[24:25], v[98:99] op_sel:[0,0,1] op_sel_hi:[1,0,0]
	v_mov_b32_e32 v102, v100
	v_mov_b32_e32 v103, v99
	v_pk_add_f32 v[56:57], v[102:103], v[56:57]
	ds_write2_b64 v77, v[36:37], v[56:57] offset0:2 offset1:3
	v_pk_mul_f32 v[36:37], v[6:7], s[34:35] op_sel_hi:[1,0]
	v_mov_b32_e32 v108, v106
	v_pk_fma_f32 v[56:57], v[4:5], s[14:15], v[36:37] op_sel:[0,0,1] op_sel_hi:[1,0,0] neg_lo:[0,0,1] neg_hi:[0,0,1]
	v_pk_fma_f32 v[36:37], v[4:5], s[14:15], v[36:37] op_sel:[0,0,1] op_sel_hi:[1,0,0]
	v_mov_b32_e32 v109, v105
	v_mov_b32_e32 v102, v56
	;; [unrolled: 1-line block ×3, first 2 shown]
	v_pk_add_f32 v[108:109], v[0:1], v[108:109]
	v_pk_mul_f32 v[6:7], v[6:7], s[28:29] op_sel_hi:[1,0]
	v_pk_add_f32 v[102:103], v[102:103], v[108:109]
	v_pk_mul_f32 v[108:109], v[12:13], s[18:19] op_sel_hi:[1,0]
	v_mov_b32_e32 v105, v107
	v_pk_fma_f32 v[110:111], v[8:9], s[12:13], v[108:109] op_sel:[0,0,1] op_sel_hi:[1,0,0] neg_lo:[0,0,1] neg_hi:[0,0,1]
	v_pk_fma_f32 v[108:109], v[8:9], s[12:13], v[108:109] op_sel:[0,0,1] op_sel_hi:[1,0,0]
	v_mov_b32_e32 v112, v110
	v_mov_b32_e32 v113, v109
	v_pk_add_f32 v[102:103], v[112:113], v[102:103]
	v_pk_mul_f32 v[112:113], v[32:33], s[22:23] op_sel_hi:[1,0]
	v_mov_b32_e32 v37, v57
	v_pk_fma_f32 v[114:115], v[30:31], s[20:21], v[112:113] op_sel:[0,0,1] op_sel_hi:[1,0,0] neg_lo:[0,0,1] neg_hi:[0,0,1]
	v_pk_fma_f32 v[112:113], v[30:31], s[20:21], v[112:113] op_sel:[0,0,1] op_sel_hi:[1,0,0]
	v_mov_b32_e32 v116, v114
	v_mov_b32_e32 v117, v113
	v_pk_add_f32 v[102:103], v[116:117], v[102:103]
	v_pk_mul_f32 v[116:117], v[24:25], s[30:31] op_sel_hi:[1,0]
	v_pk_mul_f32 v[24:25], v[24:25], s[16:17] op_sel_hi:[1,0]
	v_pk_fma_f32 v[118:119], v[22:23], s[2:3], v[116:117] op_sel:[0,0,1] op_sel_hi:[1,0,0] neg_lo:[0,0,1] neg_hi:[0,0,1]
	v_pk_fma_f32 v[116:117], v[22:23], s[2:3], v[116:117] op_sel:[0,0,1] op_sel_hi:[1,0,0]
	v_mov_b32_e32 v120, v118
	v_mov_b32_e32 v121, v117
	v_pk_add_f32 v[102:103], v[120:121], v[102:103]
	v_pk_fma_f32 v[120:121], v[4:5], s[12:13], v[6:7] op_sel:[0,0,1] op_sel_hi:[1,0,0] neg_lo:[0,0,1] neg_hi:[0,0,1]
	v_pk_fma_f32 v[4:5], v[4:5], s[12:13], v[6:7] op_sel:[0,0,1] op_sel_hi:[1,0,0]
	v_pk_mul_f32 v[6:7], v[12:13], s[26:27] op_sel_hi:[1,0]
	v_mov_b32_e32 v109, v111
	v_pk_fma_f32 v[12:13], v[8:9], s[24:25], v[6:7] op_sel:[0,0,1] op_sel_hi:[1,0,0] neg_lo:[0,0,1] neg_hi:[0,0,1]
	v_pk_fma_f32 v[6:7], v[8:9], s[24:25], v[6:7] op_sel:[0,0,1] op_sel_hi:[1,0,0]
	v_pk_mul_f32 v[8:9], v[32:33], s[30:31] op_sel_hi:[1,0]
	v_mov_b32_e32 v113, v115
	v_pk_fma_f32 v[32:33], v[30:31], s[2:3], v[8:9] op_sel:[0,0,1] op_sel_hi:[1,0,0] neg_lo:[0,0,1] neg_hi:[0,0,1]
	v_pk_fma_f32 v[8:9], v[30:31], s[2:3], v[8:9] op_sel:[0,0,1] op_sel_hi:[1,0,0]
	v_pk_fma_f32 v[30:31], v[22:23], s[14:15], v[24:25] op_sel:[0,0,1] op_sel_hi:[1,0,0] neg_lo:[0,0,1] neg_hi:[0,0,1]
	v_pk_fma_f32 v[22:23], v[22:23], s[14:15], v[24:25] op_sel:[0,0,1] op_sel_hi:[1,0,0]
	v_pk_mul_f32 v[24:25], v[34:35], s[22:23] op_sel_hi:[1,0]
	v_mov_b32_e32 v117, v119
	v_pk_fma_f32 v[34:35], v[28:29], s[20:21], v[24:25] op_sel:[0,0,1] op_sel_hi:[1,0,0] neg_lo:[0,0,1] neg_hi:[0,0,1]
	v_pk_fma_f32 v[24:25], v[28:29], s[20:21], v[24:25] op_sel:[0,0,1] op_sel_hi:[1,0,0]
	v_mov_b32_e32 v122, v34
	v_mov_b32_e32 v123, v25
	;; [unrolled: 1-line block ×4, first 2 shown]
	v_pk_add_f32 v[122:123], v[0:1], v[122:123]
	v_mov_b32_e32 v25, v35
	v_pk_add_f32 v[28:29], v[28:29], v[122:123]
	v_mov_b32_e32 v122, v12
	v_mov_b32_e32 v123, v7
	;; [unrolled: 1-line block ×4, first 2 shown]
	v_pk_add_f32 v[12:13], v[0:1], v[24:25]
	v_pk_add_f32 v[28:29], v[122:123], v[28:29]
	;; [unrolled: 1-line block ×3, first 2 shown]
	v_mov_b32_e32 v122, v32
	v_pk_add_f32 v[4:5], v[6:7], v[4:5]
	v_pk_add_f32 v[6:7], v[0:1], v[104:105]
	v_mov_b32_e32 v123, v9
	v_pk_add_f32 v[6:7], v[36:37], v[6:7]
	v_mov_b32_e32 v9, v33
	v_pk_add_f32 v[6:7], v[108:109], v[6:7]
	v_pk_add_f32 v[28:29], v[122:123], v[28:29]
	v_mov_b32_e32 v123, v23
	v_mov_b32_e32 v23, v31
	v_pk_add_f32 v[4:5], v[8:9], v[4:5]
	v_pk_add_f32 v[6:7], v[112:113], v[6:7]
	;; [unrolled: 1-line block ×4, first 2 shown]
	v_mov_b32_e32 v44, v26
	v_mov_b32_e32 v14, v10
	;; [unrolled: 1-line block ×5, first 2 shown]
	ds_write2_b64 v77, v[4:5], v[6:7] offset0:6 offset1:7
	v_pk_add_f32 v[4:5], v[0:1], v[26:27]
	v_pk_add_f32 v[2:3], v[0:1], v[10:11]
	v_mov_b32_e32 v53, v55
	v_pk_add_f32 v[0:1], v[0:1], v[58:59]
	v_mov_b32_e32 v48, v42
	;; [unrolled: 2-line block ×4, first 2 shown]
	v_mov_b32_e32 v16, v18
	v_pk_add_f32 v[4:5], v[48:49], v[4:5]
	v_pk_add_f32 v[2:3], v[14:15], v[2:3]
	v_mov_b32_e32 v95, v97
	v_pk_add_f32 v[0:1], v[62:63], v[0:1]
	v_mov_b32_e32 v122, v30
	v_mov_b32_e32 v18, v20
	;; [unrolled: 1-line block ×4, first 2 shown]
	v_pk_add_f32 v[4:5], v[42:43], v[4:5]
	v_pk_add_f32 v[2:3], v[16:17], v[2:3]
	v_mov_b32_e32 v99, v101
	v_pk_add_f32 v[0:1], v[94:95], v[0:1]
	v_pk_add_f32 v[28:29], v[122:123], v[28:29]
	;; [unrolled: 1-line block ×5, first 2 shown]
	ds_write2_b64 v77, v[102:103], v[28:29] offset0:4 offset1:5
	v_pk_add_f32 v[36:37], v[20:21], v[2:3]
	ds_write2_b64 v77, v[0:1], v[32:33] offset0:8 offset1:9
	ds_write_b64 v77, v[36:37] offset:80
	v_add_u32_e32 v0, 0x1c00, v64
	s_waitcnt lgkmcnt(0)
	s_barrier
	ds_read2_b64 v[24:27], v64 offset1:132
	ds_read2_b64 v[16:19], v65 offset0:8 offset1:228
	ds_read2_b64 v[28:31], v0 offset0:72 offset1:204
	;; [unrolled: 1-line block ×3, first 2 shown]
	ds_read_b64 v[34:35], v64 offset:9856
	s_load_dwordx2 s[12:13], s[0:1], 0x38
	s_movk_i32 s0, 0x58
	v_cmp_gt_u16_e32 vcc, s0, v68
                                        ; implicit-def: $vgpr38
                                        ; implicit-def: $vgpr40
	s_and_saveexec_b64 s[0:1], vcc
	s_cbranch_execz .LBB0_3
; %bb.2:
	ds_read_b64 v[38:39], v64 offset:10912
	ds_read_b64 v[32:33], v64 offset:3168
	;; [unrolled: 1-line block ×3, first 2 shown]
	s_waitcnt lgkmcnt(0)
	v_mov_b32_e32 v40, v39
.LBB0_3:
	s_or_b64 exec, exec, s[0:1]
	s_mov_b64 s[0:1], 0x84
	v_lshl_add_u64 v[4:5], v[68:69], 0, s[0:1]
	s_movk_i32 s0, 0x75
	v_mul_lo_u16_sdwa v0, v68, s0 dst_sel:DWORD dst_unused:UNUSED_PAD src0_sel:BYTE_0 src1_sel:DWORD
	v_sub_u16_sdwa v1, v68, v0 dst_sel:DWORD dst_unused:UNUSED_PAD src0_sel:DWORD src1_sel:BYTE_1
	v_lshrrev_b16_e32 v1, 1, v1
	v_and_b32_e32 v1, 0x7f, v1
	v_add_u16_sdwa v0, v1, v0 dst_sel:DWORD dst_unused:UNUSED_PAD src0_sel:DWORD src1_sel:BYTE_1
	v_lshrrev_b16_e32 v39, 3, v0
	v_add_u16_e32 v0, 0x18c, v68
	v_mul_u32_u24_e32 v1, 0xba2f, v0
	v_lshrrev_b32_e32 v136, 19, v1
	v_mul_lo_u16_e32 v1, 11, v136
	v_sub_u16_e32 v137, v0, v1
	s_mov_b32 s2, 0xba2f
	v_lshlrev_b16_e32 v0, 1, v137
	v_mul_u32_u24_sdwa v6, v4, s2 dst_sel:DWORD dst_unused:UNUSED_PAD src0_sel:WORD_0 src1_sel:DWORD
	v_mul_lo_u16_e32 v5, 11, v39
	v_lshlrev_b32_e32 v0, 3, v0
	v_lshrrev_b32_e32 v42, 19, v6
	global_load_dwordx4 v[0:3], v0, s[10:11]
	v_sub_u16_e32 v5, v68, v5
	v_mul_lo_u16_e32 v6, 11, v42
	v_and_b32_e32 v41, 0xff, v5
	v_sub_u16_e32 v43, v4, v6
	v_lshlrev_b32_e32 v5, 4, v41
	global_load_dwordx4 v[4:7], v5, s[10:11]
	v_lshlrev_b16_e32 v8, 1, v43
	v_lshlrev_b32_e32 v8, 3, v8
	global_load_dwordx4 v[8:11], v8, s[10:11]
	s_mov_b64 s[0:1], 0x108
	v_lshl_add_u64 v[92:93], v[68:69], 0, s[0:1]
	v_mul_u32_u24_sdwa v12, v92, s2 dst_sel:DWORD dst_unused:UNUSED_PAD src0_sel:WORD_0 src1_sel:DWORD
	v_lshrrev_b32_e32 v56, 19, v12
	v_mul_lo_u16_e32 v12, 11, v56
	v_sub_u16_e32 v57, v92, v12
	v_lshlrev_b16_e32 v12, 1, v57
	v_lshlrev_b32_e32 v12, 3, v12
	global_load_dwordx4 v[12:15], v12, s[10:11]
	v_mad_legacy_u16 v42, v42, 33, v43
	v_mul_u32_u24_e32 v39, 33, v39
	v_lshlrev_b32_e32 v138, 3, v42
	v_add_lshl_u32 v139, v39, v41, 3
	s_mov_b32 s0, 0x3f5db3d7
	s_waitcnt lgkmcnt(0)
	s_barrier
	s_waitcnt vmcnt(3)
	v_pk_mul_f32 v[42:43], v[36:37], v[0:1] op_sel:[1,0]
	v_pk_mul_f32 v[40:41], v[40:41], v[2:3] op_sel_hi:[0,1]
	v_pk_fma_f32 v[44:45], v[36:37], v[0:1], v[42:43] op_sel:[0,0,1] op_sel_hi:[0,1,0]
	v_pk_fma_f32 v[36:37], v[36:37], v[0:1], v[42:43] op_sel:[0,0,1] op_sel_hi:[0,1,0] neg_lo:[0,0,1] neg_hi:[0,0,1]
	v_pk_fma_f32 v[42:43], v[38:39], v[2:3], v[40:41] op_sel:[0,0,1] op_sel_hi:[0,1,0]
	v_pk_fma_f32 v[38:39], v[38:39], v[2:3], v[40:41] op_sel:[0,0,1] op_sel_hi:[0,1,0] neg_lo:[0,0,1] neg_hi:[0,0,1]
	v_mov_b32_e32 v37, v45
	v_mov_b32_e32 v39, v43
	v_pk_add_f32 v[40:41], v[36:37], v[38:39]
	v_pk_add_f32 v[42:43], v[36:37], v[38:39] neg_lo:[0,1] neg_hi:[0,1]
	s_waitcnt vmcnt(2)
	v_pk_mul_f32 v[44:45], v[18:19], v[4:5] op_sel:[0,1]
	v_mov_b32_e32 v46, v7
	s_waitcnt vmcnt(1)
	v_pk_mul_f32 v[48:49], v[20:21], v[8:9] op_sel:[0,1]
	v_mov_b32_e32 v50, v11
	v_pk_fma_f32 v[40:41], v[40:41], 0.5, v[32:33] op_sel_hi:[1,0,1] neg_lo:[1,0,0] neg_hi:[1,0,0]
	v_pk_mul_f32 v[42:43], v[42:43], s[0:1] op_sel_hi:[1,0]
	v_pk_fma_f32 v[52:53], v[18:19], v[4:5], v[44:45] op_sel:[0,0,1] op_sel_hi:[1,1,0] neg_lo:[0,0,1] neg_hi:[0,0,1]
	v_pk_fma_f32 v[44:45], v[18:19], v[4:5], v[44:45] op_sel:[0,0,1] op_sel_hi:[1,0,0]
	v_pk_mul_f32 v[46:47], v[28:29], v[46:47] op_sel_hi:[1,0]
	v_pk_fma_f32 v[54:55], v[20:21], v[8:9], v[48:49] op_sel:[0,0,1] op_sel_hi:[1,1,0] neg_lo:[0,0,1] neg_hi:[0,0,1]
	v_pk_fma_f32 v[48:49], v[20:21], v[8:9], v[48:49] op_sel:[0,0,1] op_sel_hi:[1,0,0]
	v_pk_mul_f32 v[50:51], v[30:31], v[50:51] op_sel_hi:[1,0]
	v_pk_add_f32 v[18:19], v[40:41], v[42:43] op_sel:[0,1] op_sel_hi:[1,0]
	v_pk_add_f32 v[20:21], v[40:41], v[42:43] op_sel:[0,1] op_sel_hi:[1,0] neg_lo:[0,1] neg_hi:[0,1]
	v_mov_b32_e32 v53, v45
	v_pk_fma_f32 v[40:41], v[28:29], v[6:7], v[46:47] op_sel:[0,0,1] op_sel_hi:[1,1,0] neg_lo:[0,0,1] neg_hi:[0,0,1]
	v_pk_fma_f32 v[28:29], v[28:29], v[6:7], v[46:47] op_sel:[0,0,1] op_sel_hi:[1,0,0]
	v_pk_fma_f32 v[42:43], v[30:31], v[10:11], v[50:51] op_sel:[0,0,1] op_sel_hi:[1,1,0] neg_lo:[0,0,1] neg_hi:[0,0,1]
	v_pk_fma_f32 v[30:31], v[30:31], v[10:11], v[50:51] op_sel:[0,0,1] op_sel_hi:[1,0,0]
	v_mov_b32_e32 v41, v29
	v_pk_add_f32 v[28:29], v[24:25], v[52:53]
	v_mov_b32_e32 v55, v49
	v_mov_b32_e32 v43, v31
	v_pk_add_f32 v[28:29], v[28:29], v[40:41]
	v_pk_add_f32 v[30:31], v[52:53], v[40:41]
	v_pk_add_f32 v[40:41], v[52:53], v[40:41] neg_lo:[0,1] neg_hi:[0,1]
	v_pk_add_f32 v[44:45], v[54:55], v[42:43]
	v_pk_add_f32 v[46:47], v[54:55], v[42:43] neg_lo:[0,1] neg_hi:[0,1]
	v_pk_fma_f32 v[24:25], v[30:31], 0.5, v[24:25] op_sel_hi:[1,0,1] neg_lo:[1,0,0] neg_hi:[1,0,0]
	v_pk_mul_f32 v[30:31], v[40:41], s[0:1] op_sel_hi:[1,0]
	v_pk_fma_f32 v[40:41], v[44:45], 0.5, v[26:27] op_sel_hi:[1,0,1] neg_lo:[1,0,0] neg_hi:[1,0,0]
	v_pk_mul_f32 v[44:45], v[46:47], s[0:1] op_sel_hi:[1,0]
	v_pk_add_f32 v[46:47], v[24:25], v[30:31] op_sel:[0,1] op_sel_hi:[1,0]
	v_pk_add_f32 v[24:25], v[24:25], v[30:31] op_sel:[0,1] op_sel_hi:[1,0] neg_lo:[0,1] neg_hi:[0,1]
	v_mov_b32_e32 v30, v46
	v_mov_b32_e32 v31, v25
	;; [unrolled: 1-line block ×3, first 2 shown]
	ds_write2_b64 v139, v[28:29], v[30:31] offset1:11
	ds_write_b64 v139, v[24:25] offset:176
	v_pk_add_f32 v[24:25], v[40:41], v[44:45] op_sel:[0,1] op_sel_hi:[1,0] neg_lo:[0,1] neg_hi:[0,1]
	v_pk_add_f32 v[28:29], v[40:41], v[44:45] op_sel:[0,1] op_sel_hi:[1,0]
	v_pk_add_f32 v[26:27], v[26:27], v[54:55]
	v_mov_b32_e32 v31, v25
	v_mov_b32_e32 v25, v29
	v_pk_add_f32 v[26:27], v[26:27], v[42:43]
	v_mov_b32_e32 v30, v28
	ds_write_b64 v138, v[24:25] offset:176
	s_waitcnt vmcnt(0)
	v_pk_mul_f32 v[24:25], v[22:23], v[12:13] op_sel:[0,1]
	v_mov_b32_e32 v100, v20
	ds_write2_b64 v138, v[26:27], v[30:31] offset1:11
	v_pk_fma_f32 v[26:27], v[22:23], v[12:13], v[24:25] op_sel:[0,0,1] op_sel_hi:[1,1,0] neg_lo:[0,0,1] neg_hi:[0,0,1]
	v_pk_fma_f32 v[22:23], v[22:23], v[12:13], v[24:25] op_sel:[0,0,1] op_sel_hi:[1,0,0]
	v_mov_b32_e32 v20, v15
	v_mov_b32_e32 v27, v23
	v_pk_mul_f32 v[22:23], v[34:35], v[20:21] op_sel_hi:[1,0]
	v_mov_b32_e32 v101, v19
	v_pk_fma_f32 v[24:25], v[34:35], v[14:15], v[22:23] op_sel:[0,0,1] op_sel_hi:[1,1,0] neg_lo:[0,0,1] neg_hi:[0,0,1]
	v_pk_fma_f32 v[22:23], v[34:35], v[14:15], v[22:23] op_sel:[0,0,1] op_sel_hi:[1,0,0]
	v_mad_legacy_u16 v19, v56, 33, v57
	v_mov_b32_e32 v25, v23
	v_pk_add_f32 v[22:23], v[26:27], v[24:25]
	v_pk_add_f32 v[28:29], v[26:27], v[24:25] neg_lo:[0,1] neg_hi:[0,1]
	v_pk_fma_f32 v[22:23], v[22:23], 0.5, v[16:17] op_sel_hi:[1,0,1] neg_lo:[1,0,0] neg_hi:[1,0,0]
	v_pk_mul_f32 v[28:29], v[28:29], s[0:1] op_sel_hi:[1,0]
	v_pk_add_f32 v[16:17], v[16:17], v[26:27]
	v_pk_add_f32 v[30:31], v[22:23], v[28:29] op_sel:[0,1] op_sel_hi:[1,0] neg_lo:[0,1] neg_hi:[0,1]
	v_pk_add_f32 v[22:23], v[22:23], v[28:29] op_sel:[0,1] op_sel_hi:[1,0]
	v_lshlrev_b32_e32 v140, 3, v19
	v_pk_add_f32 v[16:17], v[16:17], v[24:25]
	v_mov_b32_e32 v24, v22
	v_mov_b32_e32 v25, v31
	;; [unrolled: 1-line block ×3, first 2 shown]
	ds_write2_b64 v140, v[16:17], v[24:25] offset1:11
	ds_write_b64 v140, v[30:31] offset:176
	s_and_saveexec_b64 s[0:1], vcc
	s_cbranch_execz .LBB0_5
; %bb.4:
	v_mad_legacy_u16 v16, v136, 33, v137
	v_lshlrev_b32_e32 v20, 3, v16
	v_pk_add_f32 v[16:17], v[32:33], v[36:37]
	v_mov_b32_e32 v19, v21
	v_pk_add_f32 v[16:17], v[16:17], v[38:39]
	ds_write2_b64 v20, v[16:17], v[18:19] offset1:11
	ds_write_b64 v20, v[100:101] offset:176
.LBB0_5:
	s_or_b64 exec, exec, s[0:1]
	s_movk_i32 s0, 0xf9
	v_mul_lo_u16_sdwa v16, v68, s0 dst_sel:DWORD dst_unused:UNUSED_PAD src0_sel:BYTE_0 src1_sel:DWORD
	v_lshrrev_b16_e32 v65, 13, v16
	v_mul_lo_u16_e32 v16, 33, v65
	v_sub_u16_e32 v16, v68, v16
	v_and_b32_e32 v69, 0xff, v16
	s_movk_i32 s0, 0x50
	v_mov_b64_e32 v[16:17], s[10:11]
	v_mad_u64_u32 v[44:45], s[0:1], v69, s0, v[16:17]
	v_add_u32_e32 v93, 0x800, v64
	v_add_u32_e32 v46, 0x1000, v64
	;; [unrolled: 1-line block ×3, first 2 shown]
	s_waitcnt lgkmcnt(0)
	s_barrier
	global_load_dwordx4 v[28:31], v[44:45], off offset:176
	global_load_dwordx4 v[32:35], v[44:45], off offset:192
	;; [unrolled: 1-line block ×4, first 2 shown]
	ds_read2_b64 v[20:23], v64 offset1:132
	v_add_u32_e32 v99, 0x2000, v64
	ds_read2_b64 v[36:39], v93 offset0:8 offset1:140
	ds_read2_b64 v[40:43], v99 offset0:32 offset1:164
	;; [unrolled: 1-line block ×4, first 2 shown]
	global_load_dwordx4 v[44:47], v[44:45], off offset:240
	ds_read_b64 v[154:155], v64 offset:10560
	s_mov_b32 s18, 0xbf7d64f0
	s_mov_b32 s16, 0xbe11bafb
	s_mov_b32 s36, 0x3e903f40
	s_mov_b32 s14, 0x3f68dda4
	s_mov_b32 s2, 0x3ed4b147
	s_mov_b32 s28, 0xbf0a6770
	s_mov_b32 s0, 0x3f575c64
	s_mov_b32 s30, 0x3f0a6770
	s_waitcnt lgkmcnt(0)
	s_barrier
	s_waitcnt vmcnt(4)
	v_mov_b32_e32 v98, v31
	v_mul_f32_e32 v31, v23, v29
	v_pk_mul_f32 v[156:157], v[36:37], v[98:99] op_sel_hi:[1,0]
	v_mul_f32_e32 v57, v22, v29
	v_pk_fma_f32 v[158:159], v[36:37], v[30:31], v[156:157] op_sel:[0,0,1] op_sel_hi:[1,1,0] neg_lo:[0,0,1] neg_hi:[0,0,1]
	v_pk_fma_f32 v[36:37], v[36:37], v[30:31], v[156:157] op_sel:[0,0,1] op_sel_hi:[1,0,0]
	s_waitcnt vmcnt(3)
	v_pk_mul_f32 v[58:59], v[38:39], v[32:33] op_sel:[0,1]
	v_mov_b32_e32 v159, v37
	s_waitcnt vmcnt(0)
	v_pk_mul_f32 v[36:37], v[42:43], v[44:45] op_sel:[0,1]
	v_mov_b32_e32 v60, v35
	v_pk_fma_f32 v[156:157], v[42:43], v[44:45], v[36:37] op_sel:[0,0,1] op_sel_hi:[1,1,0] neg_lo:[0,0,1] neg_hi:[0,0,1]
	v_pk_fma_f32 v[36:37], v[42:43], v[44:45], v[36:37] op_sel:[0,0,1] op_sel_hi:[1,0,0]
	v_fma_f32 v56, v22, v28, -v31
	v_mov_b32_e32 v36, v47
	v_mov_b32_e32 v157, v37
	v_pk_mul_f32 v[36:37], v[154:155], v[36:37] op_sel_hi:[1,0]
	v_fmac_f32_e32 v57, v23, v28
	v_pk_fma_f32 v[42:43], v[154:155], v[46:47], v[36:37] op_sel:[0,0,1] op_sel_hi:[1,1,0] neg_lo:[0,0,1] neg_hi:[0,0,1]
	v_pk_fma_f32 v[36:37], v[154:155], v[46:47], v[36:37] op_sel:[0,0,1] op_sel_hi:[1,0,0]
	v_pk_fma_f32 v[22:23], v[38:39], v[32:33], v[58:59] op_sel:[0,0,1] op_sel_hi:[1,0,0]
	v_pk_fma_f32 v[38:39], v[38:39], v[32:33], v[58:59] op_sel:[0,0,1] op_sel_hi:[1,0,0] neg_lo:[0,0,1] neg_hi:[0,0,1]
	v_pk_mul_f32 v[58:59], v[48:49], v[60:61] op_sel_hi:[1,0]
	v_mov_b32_e32 v43, v37
	v_pk_add_f32 v[36:37], v[20:21], v[56:57]
	v_pk_mul_f32 v[62:63], v[50:51], v[24:25] op_sel:[0,1]
	v_mov_b32_e32 v94, v27
	v_mov_b32_e32 v39, v23
	v_pk_fma_f32 v[22:23], v[48:49], v[34:35], v[58:59] op_sel:[0,0,1] op_sel_hi:[1,0,0]
	v_pk_fma_f32 v[48:49], v[48:49], v[34:35], v[58:59] op_sel:[0,0,1] op_sel_hi:[1,0,0] neg_lo:[0,0,1] neg_hi:[0,0,1]
	v_pk_add_f32 v[36:37], v[36:37], v[158:159]
	v_pk_fma_f32 v[60:61], v[50:51], v[24:25], v[62:63] op_sel:[0,0,1] op_sel_hi:[1,0,0]
	v_pk_fma_f32 v[50:51], v[50:51], v[24:25], v[62:63] op_sel:[0,0,1] op_sel_hi:[1,0,0] neg_lo:[0,0,1] neg_hi:[0,0,1]
	v_pk_mul_f32 v[62:63], v[52:53], v[94:95] op_sel_hi:[1,0]
	v_mov_b32_e32 v49, v23
	v_pk_add_f32 v[36:37], v[36:37], v[38:39]
	v_pk_mul_f32 v[96:97], v[54:55], v[16:17] op_sel:[0,1]
	v_mov_b32_e32 v102, v19
	v_mov_b32_e32 v51, v61
	v_pk_fma_f32 v[58:59], v[52:53], v[26:27], v[62:63] op_sel:[0,0,1] op_sel_hi:[1,0,0]
	v_pk_fma_f32 v[52:53], v[52:53], v[26:27], v[62:63] op_sel:[0,0,1] op_sel_hi:[1,0,0] neg_lo:[0,0,1] neg_hi:[0,0,1]
	v_pk_add_f32 v[36:37], v[36:37], v[48:49]
	v_pk_fma_f32 v[94:95], v[54:55], v[16:17], v[96:97] op_sel:[0,0,1] op_sel_hi:[1,0,0]
	v_pk_fma_f32 v[54:55], v[54:55], v[16:17], v[96:97] op_sel:[0,0,1] op_sel_hi:[1,0,0] neg_lo:[0,0,1] neg_hi:[0,0,1]
	v_pk_mul_f32 v[96:97], v[40:41], v[102:103] op_sel_hi:[1,0]
	v_mov_b32_e32 v53, v59
	v_pk_add_f32 v[36:37], v[36:37], v[50:51]
	v_mov_b32_e32 v55, v95
	v_pk_fma_f32 v[60:61], v[40:41], v[18:19], v[96:97] op_sel:[0,0,1] op_sel_hi:[1,0,0]
	v_pk_fma_f32 v[40:41], v[40:41], v[18:19], v[96:97] op_sel:[0,0,1] op_sel_hi:[1,0,0] neg_lo:[0,0,1] neg_hi:[0,0,1]
	v_pk_add_f32 v[36:37], v[36:37], v[52:53]
	v_mov_b32_e32 v41, v61
	v_pk_add_f32 v[36:37], v[36:37], v[54:55]
	v_pk_add_f32 v[22:23], v[38:39], v[40:41]
	;; [unrolled: 1-line block ×3, first 2 shown]
	v_pk_add_f32 v[58:59], v[38:39], v[40:41] neg_lo:[0,1] neg_hi:[0,1]
	v_pk_add_f32 v[36:37], v[36:37], v[156:157]
	v_pk_add_f32 v[40:41], v[56:57], v[42:43] neg_lo:[0,1] neg_hi:[0,1]
	v_pk_add_f32 v[60:61], v[48:49], v[54:55]
	v_pk_add_f32 v[62:63], v[48:49], v[54:55] neg_lo:[0,1] neg_hi:[0,1]
	v_pk_add_f32 v[36:37], v[36:37], v[42:43]
	v_pk_add_f32 v[38:39], v[56:57], v[42:43]
	v_pk_mul_f32 v[42:43], v[40:41], s[18:19] op_sel:[1,0] op_sel_hi:[0,0]
	v_pk_add_f32 v[54:55], v[158:159], v[156:157] neg_lo:[0,1] neg_hi:[0,1]
	v_pk_add_f32 v[94:95], v[50:51], v[52:53]
	v_pk_add_f32 v[96:97], v[50:51], v[52:53] neg_lo:[0,1] neg_hi:[0,1]
	v_pk_fma_f32 v[48:49], v[38:39], s[16:17], v[42:43] op_sel_hi:[1,0,1] neg_lo:[0,0,1] neg_hi:[0,0,1]
	v_pk_fma_f32 v[42:43], v[38:39], s[16:17], v[42:43] op_sel_hi:[1,0,1]
	v_pk_add_f32 v[52:53], v[158:159], v[156:157]
	v_pk_mul_f32 v[56:57], v[54:55], s[36:37] op_sel:[1,0] op_sel_hi:[0,0]
	v_pk_mul_f32 v[102:103], v[58:59], s[14:15] op_sel:[1,0] op_sel_hi:[0,0]
	v_mov_b32_e32 v50, v42
	v_mov_b32_e32 v51, v49
	v_pk_fma_f32 v[154:155], v[52:53], s[20:21], v[56:57] op_sel_hi:[1,0,1] neg_lo:[0,0,1] neg_hi:[0,0,1]
	v_pk_fma_f32 v[56:57], v[52:53], s[20:21], v[56:57] op_sel_hi:[1,0,1]
	v_pk_mul_f32 v[104:105], v[62:63], s[28:29] op_sel:[1,0] op_sel_hi:[0,0]
	v_pk_fma_f32 v[110:111], v[22:23], s[2:3], v[102:103] op_sel_hi:[1,0,1] neg_lo:[0,0,1] neg_hi:[0,0,1]
	v_pk_fma_f32 v[112:113], v[22:23], s[2:3], v[102:103] op_sel_hi:[1,0,1]
	v_pk_add_f32 v[50:51], v[20:21], v[50:51]
	v_mov_b32_e32 v156, v56
	v_mov_b32_e32 v157, v155
	v_pk_fma_f32 v[114:115], v[60:61], s[0:1], v[104:105] op_sel_hi:[1,0,1] neg_lo:[0,0,1] neg_hi:[0,0,1]
	v_pk_fma_f32 v[116:117], v[60:61], s[0:1], v[104:105] op_sel_hi:[1,0,1]
	v_mov_b32_e32 v102, v112
	v_mov_b32_e32 v103, v111
	v_pk_add_f32 v[50:51], v[156:157], v[50:51]
	v_mov_b32_e32 v104, v116
	v_mov_b32_e32 v105, v115
	v_pk_mul_f32 v[132:133], v[58:59], s[36:37] op_sel:[1,0] op_sel_hi:[0,0]
	v_pk_add_f32 v[50:51], v[102:103], v[50:51]
	v_pk_mul_f32 v[102:103], v[40:41], s[28:29] op_sel:[1,0] op_sel_hi:[0,0]
	s_mov_b32 s36, 0xbf68dda4
	v_pk_add_f32 v[50:51], v[104:105], v[50:51]
	v_pk_fma_f32 v[156:157], v[38:39], s[0:1], v[102:103] op_sel_hi:[1,0,1]
	v_pk_fma_f32 v[158:159], v[38:39], s[0:1], v[102:103] op_sel_hi:[1,0,1] neg_lo:[0,0,1] neg_hi:[0,0,1]
	v_pk_mul_f32 v[104:105], v[54:55], s[36:37] op_sel:[1,0] op_sel_hi:[0,0]
	v_pk_mul_f32 v[106:107], v[58:59], s[18:19] op_sel:[1,0] op_sel_hi:[0,0]
	v_mov_b32_e32 v102, v156
	v_mov_b32_e32 v103, v159
	v_pk_fma_f32 v[160:161], v[52:53], s[2:3], v[104:105] op_sel_hi:[1,0,1]
	v_pk_fma_f32 v[162:163], v[52:53], s[2:3], v[104:105] op_sel_hi:[1,0,1] neg_lo:[0,0,1] neg_hi:[0,0,1]
	v_pk_mul_f32 v[108:109], v[62:63], s[26:27] op_sel:[1,0] op_sel_hi:[0,0]
	v_pk_fma_f32 v[118:119], v[22:23], s[16:17], v[106:107] op_sel_hi:[1,0,1]
	v_pk_fma_f32 v[120:121], v[22:23], s[16:17], v[106:107] op_sel_hi:[1,0,1] neg_lo:[0,0,1] neg_hi:[0,0,1]
	v_pk_add_f32 v[102:103], v[20:21], v[102:103]
	v_mov_b32_e32 v104, v160
	v_mov_b32_e32 v105, v163
	v_pk_fma_f32 v[122:123], v[60:61], s[24:25], v[108:109] op_sel_hi:[1,0,1]
	v_pk_fma_f32 v[108:109], v[60:61], s[24:25], v[108:109] op_sel_hi:[1,0,1] neg_lo:[0,0,1] neg_hi:[0,0,1]
	v_mov_b32_e32 v106, v118
	v_mov_b32_e32 v107, v121
	v_pk_mul_f32 v[126:127], v[96:97], s[22:23] op_sel:[1,0] op_sel_hi:[0,0]
	v_pk_add_f32 v[102:103], v[104:105], v[102:103]
	v_mov_b32_e32 v124, v122
	v_mov_b32_e32 v125, v109
	v_pk_fma_f32 v[128:129], v[94:95], s[20:21], v[126:127] op_sel_hi:[1,0,1]
	v_pk_fma_f32 v[126:127], v[94:95], s[20:21], v[126:127] op_sel_hi:[1,0,1] neg_lo:[0,0,1] neg_hi:[0,0,1]
	v_pk_add_f32 v[102:103], v[106:107], v[102:103]
	v_mov_b32_e32 v130, v128
	v_mov_b32_e32 v131, v127
	v_pk_add_f32 v[102:103], v[124:125], v[102:103]
	v_pk_mul_f32 v[106:107], v[54:55], s[26:27] op_sel:[1,0] op_sel_hi:[0,0]
	v_pk_add_f32 v[104:105], v[130:131], v[102:103]
	v_pk_mul_f32 v[102:103], v[40:41], s[36:37] op_sel:[1,0] op_sel_hi:[0,0]
	v_pk_fma_f32 v[124:125], v[38:39], s[2:3], v[102:103] op_sel_hi:[1,0,1]
	v_pk_fma_f32 v[130:131], v[38:39], s[2:3], v[102:103] op_sel_hi:[1,0,1] neg_lo:[0,0,1] neg_hi:[0,0,1]
	v_mov_b32_e32 v102, v124
	v_mov_b32_e32 v103, v131
	v_pk_fma_f32 v[164:165], v[52:53], s[24:25], v[106:107] op_sel_hi:[1,0,1]
	v_pk_fma_f32 v[166:167], v[52:53], s[24:25], v[106:107] op_sel_hi:[1,0,1] neg_lo:[0,0,1] neg_hi:[0,0,1]
	v_pk_fma_f32 v[134:135], v[22:23], s[20:21], v[132:133] op_sel_hi:[1,0,1]
	v_pk_fma_f32 v[132:133], v[22:23], s[20:21], v[132:133] op_sel_hi:[1,0,1] neg_lo:[0,0,1] neg_hi:[0,0,1]
	v_pk_mul_f32 v[144:145], v[62:63], s[34:35] op_sel:[1,0] op_sel_hi:[0,0]
	v_pk_add_f32 v[102:103], v[20:21], v[102:103]
	v_mov_b32_e32 v106, v164
	v_mov_b32_e32 v107, v167
	;; [unrolled: 1-line block ×4, first 2 shown]
	v_pk_fma_f32 v[146:147], v[60:61], s[16:17], v[144:145] op_sel_hi:[1,0,1]
	v_pk_fma_f32 v[144:145], v[60:61], s[16:17], v[144:145] op_sel_hi:[1,0,1] neg_lo:[0,0,1] neg_hi:[0,0,1]
	v_pk_mul_f32 v[150:151], v[96:97], s[30:31] op_sel:[1,0] op_sel_hi:[0,0]
	v_pk_add_f32 v[102:103], v[106:107], v[102:103]
	v_mov_b32_e32 v148, v146
	v_mov_b32_e32 v149, v145
	v_pk_fma_f32 v[152:153], v[94:95], s[0:1], v[150:151] op_sel_hi:[1,0,1]
	v_pk_fma_f32 v[150:151], v[94:95], s[0:1], v[150:151] op_sel_hi:[1,0,1] neg_lo:[0,0,1] neg_hi:[0,0,1]
	v_pk_add_f32 v[102:103], v[142:143], v[102:103]
	v_pk_mul_f32 v[142:143], v[96:97], s[26:27] op_sel:[1,0] op_sel_hi:[0,0]
	v_mov_b32_e32 v106, v152
	v_mov_b32_e32 v107, v151
	v_pk_add_f32 v[102:103], v[148:149], v[102:103]
	v_pk_fma_f32 v[148:149], v[94:95], s[24:25], v[142:143] op_sel_hi:[1,0,1] neg_lo:[0,0,1] neg_hi:[0,0,1]
	v_pk_fma_f32 v[142:143], v[94:95], s[24:25], v[142:143] op_sel_hi:[1,0,1]
	v_pk_add_f32 v[106:107], v[106:107], v[102:103]
	v_mov_b32_e32 v102, v142
	v_mov_b32_e32 v103, v149
	v_mov_b32_e32 v159, v157
	v_pk_add_f32 v[102:103], v[102:103], v[50:51]
	v_pk_add_f32 v[50:51], v[20:21], v[158:159]
	v_mov_b32_e32 v163, v161
	v_mov_b32_e32 v121, v119
	v_pk_add_f32 v[50:51], v[162:163], v[50:51]
	v_mov_b32_e32 v109, v123
	v_pk_add_f32 v[50:51], v[120:121], v[50:51]
	v_mul_u32_u24_e32 v31, 0x16b, v65
	v_mov_b32_e32 v127, v129
	v_pk_add_f32 v[50:51], v[108:109], v[50:51]
	v_add_lshl_u32 v69, v31, v69, 3
	v_pk_add_f32 v[50:51], v[126:127], v[50:51]
	v_mov_b32_e32 v131, v125
	v_mov_b32_e32 v49, v43
	ds_write2_b64 v69, v[36:37], v[50:51] offset1:33
	v_pk_add_f32 v[36:37], v[20:21], v[130:131]
	v_mov_b32_e32 v167, v165
	v_pk_add_f32 v[42:43], v[20:21], v[48:49]
	v_mov_b32_e32 v155, v57
	v_mov_b32_e32 v133, v135
	v_pk_add_f32 v[36:37], v[166:167], v[36:37]
	v_mov_b32_e32 v111, v113
	v_pk_add_f32 v[42:43], v[154:155], v[42:43]
	;; [unrolled: 2-line block ×6, first 2 shown]
	v_pk_mul_f32 v[116:117], v[40:41], s[26:27] op_sel:[1,0] op_sel_hi:[0,0]
	v_pk_add_f32 v[36:37], v[150:151], v[36:37]
	v_pk_add_f32 v[42:43], v[148:149], v[42:43]
	v_pk_fma_f32 v[118:119], v[38:39], s[24:25], v[116:117] op_sel_hi:[1,0,1] neg_lo:[0,0,1] neg_hi:[0,0,1]
	v_pk_fma_f32 v[116:117], v[38:39], s[24:25], v[116:117] op_sel_hi:[1,0,1]
	v_pk_mul_f32 v[122:123], v[54:55], s[34:35] op_sel:[1,0] op_sel_hi:[0,0]
	ds_write2_b64 v69, v[36:37], v[42:43] offset0:66 offset1:99
	v_pk_mul_f32 v[36:37], v[58:59], s[28:29] op_sel:[1,0] op_sel_hi:[0,0]
	v_mov_b32_e32 v120, v118
	v_mov_b32_e32 v121, v117
	v_pk_fma_f32 v[124:125], v[52:53], s[16:17], v[122:123] op_sel_hi:[1,0,1] neg_lo:[0,0,1] neg_hi:[0,0,1]
	v_pk_fma_f32 v[122:123], v[52:53], s[16:17], v[122:123] op_sel_hi:[1,0,1]
	v_pk_fma_f32 v[42:43], v[22:23], s[0:1], v[36:37] op_sel_hi:[1,0,1] neg_lo:[0,0,1] neg_hi:[0,0,1]
	v_pk_fma_f32 v[36:37], v[22:23], s[0:1], v[36:37] op_sel_hi:[1,0,1]
	v_pk_mul_f32 v[50:51], v[62:63], s[22:23] op_sel:[1,0] op_sel_hi:[0,0]
	v_pk_add_f32 v[120:121], v[20:21], v[120:121]
	v_mov_b32_e32 v126, v124
	v_mov_b32_e32 v127, v123
	v_pk_mul_f32 v[40:41], v[40:41], s[22:23] op_sel:[1,0] op_sel_hi:[0,0]
	v_mov_b32_e32 v48, v42
	v_mov_b32_e32 v49, v37
	v_pk_fma_f32 v[56:57], v[60:61], s[20:21], v[50:51] op_sel_hi:[1,0,1] neg_lo:[0,0,1] neg_hi:[0,0,1]
	v_pk_fma_f32 v[50:51], v[60:61], s[20:21], v[50:51] op_sel_hi:[1,0,1]
	v_pk_mul_f32 v[110:111], v[96:97], s[14:15] op_sel:[1,0] op_sel_hi:[0,0]
	v_pk_add_f32 v[120:121], v[126:127], v[120:121]
	v_pk_fma_f32 v[126:127], v[38:39], s[20:21], v[40:41] op_sel_hi:[1,0,1] neg_lo:[0,0,1] neg_hi:[0,0,1]
	v_pk_fma_f32 v[38:39], v[38:39], s[20:21], v[40:41] op_sel_hi:[1,0,1]
	v_pk_mul_f32 v[54:55], v[54:55], s[30:31] op_sel:[1,0] op_sel_hi:[0,0]
	v_mov_b32_e32 v108, v56
	v_mov_b32_e32 v109, v51
	v_pk_fma_f32 v[112:113], v[94:95], s[2:3], v[110:111] op_sel_hi:[1,0,1] neg_lo:[0,0,1] neg_hi:[0,0,1]
	v_pk_fma_f32 v[110:111], v[94:95], s[2:3], v[110:111] op_sel_hi:[1,0,1]
	v_pk_add_f32 v[48:49], v[48:49], v[120:121]
	v_pk_mul_f32 v[58:59], v[58:59], s[26:27] op_sel:[1,0] op_sel_hi:[0,0]
	v_mov_b32_e32 v40, v126
	v_mov_b32_e32 v41, v39
	v_pk_fma_f32 v[128:129], v[52:53], s[0:1], v[54:55] op_sel_hi:[1,0,1] neg_lo:[0,0,1] neg_hi:[0,0,1]
	v_pk_fma_f32 v[52:53], v[52:53], s[0:1], v[54:55] op_sel_hi:[1,0,1]
	v_mov_b32_e32 v39, v127
	v_mov_b32_e32 v117, v119
	;; [unrolled: 1-line block ×4, first 2 shown]
	v_pk_add_f32 v[48:49], v[108:109], v[48:49]
	v_pk_fma_f32 v[108:109], v[22:23], s[24:25], v[58:59] op_sel_hi:[1,0,1] neg_lo:[0,0,1] neg_hi:[0,0,1]
	v_pk_fma_f32 v[22:23], v[22:23], s[24:25], v[58:59] op_sel_hi:[1,0,1]
	v_pk_mul_f32 v[62:63], v[62:63], s[14:15] op_sel:[1,0] op_sel_hi:[0,0]
	v_pk_add_f32 v[40:41], v[20:21], v[40:41]
	v_mov_b32_e32 v55, v53
	v_pk_add_f32 v[38:39], v[20:21], v[38:39]
	v_mov_b32_e32 v53, v129
	;; [unrolled: 2-line block ×4, first 2 shown]
	v_pk_fma_f32 v[114:115], v[60:61], s[2:3], v[62:63] op_sel_hi:[1,0,1] neg_lo:[0,0,1] neg_hi:[0,0,1]
	v_pk_fma_f32 v[60:61], v[60:61], s[2:3], v[62:63] op_sel_hi:[1,0,1]
	v_pk_mul_f32 v[96:97], v[96:97], s[18:19] op_sel:[1,0] op_sel_hi:[0,0]
	v_mov_b32_e32 v54, v128
	v_mov_b32_e32 v23, v109
	v_pk_add_f32 v[38:39], v[52:53], v[38:39]
	v_mov_b32_e32 v37, v43
	v_pk_add_f32 v[20:21], v[122:123], v[20:21]
	v_mov_b32_e32 v58, v108
	v_mov_b32_e32 v63, v61
	v_pk_fma_f32 v[120:121], v[94:95], s[16:17], v[96:97] op_sel_hi:[1,0,1] neg_lo:[0,0,1] neg_hi:[0,0,1]
	v_pk_fma_f32 v[94:95], v[94:95], s[16:17], v[96:97] op_sel_hi:[1,0,1]
	v_pk_add_f32 v[40:41], v[54:55], v[40:41]
	v_mov_b32_e32 v61, v115
	v_pk_add_f32 v[22:23], v[22:23], v[38:39]
	v_mov_b32_e32 v51, v57
	v_pk_add_f32 v[20:21], v[36:37], v[20:21]
	v_mov_b32_e32 v62, v114
	v_mov_b32_e32 v97, v95
	v_pk_add_f32 v[40:41], v[58:59], v[40:41]
	v_mov_b32_e32 v95, v121
	v_pk_add_f32 v[22:23], v[60:61], v[22:23]
	v_mov_b32_e32 v111, v113
	v_pk_add_f32 v[20:21], v[50:51], v[20:21]
	v_mov_b32_e32 v96, v120
	v_pk_add_f32 v[40:41], v[62:63], v[40:41]
	v_pk_add_f32 v[22:23], v[94:95], v[22:23]
	v_pk_add_f32 v[20:21], v[110:111], v[20:21]
	;; [unrolled: 1-line block ×3, first 2 shown]
	ds_write2_b64 v69, v[22:23], v[20:21] offset0:198 offset1:231
	v_add_u32_e32 v20, 0x800, v69
	ds_write2_b64 v69, v[48:49], v[40:41] offset0:132 offset1:165
	ds_write2_b64 v20, v[102:103], v[106:107] offset0:8 offset1:41
	ds_write_b64 v69, v[104:105] offset:2640
	v_add_u32_e32 v20, 0x1400, v64
	s_waitcnt lgkmcnt(0)
	s_barrier
	ds_read2_b64 v[48:51], v64 offset1:132
	ds_read2_b64 v[56:59], v93 offset0:107 offset1:239
	ds_read2_b64 v[52:55], v20 offset0:86 offset1:218
	;; [unrolled: 1-line block ×3, first 2 shown]
	s_movk_i32 s0, 0x63
	s_movk_i32 s14, 0x1000
	v_cmp_gt_u16_e64 s[0:1], s0, v68
	s_and_saveexec_b64 s[2:3], s[0:1]
	s_cbranch_execz .LBB0_7
; %bb.6:
	ds_read_b64 v[102:103], v64 offset:2112
	ds_read_b64 v[106:107], v64 offset:5016
	;; [unrolled: 1-line block ×4, first 2 shown]
.LBB0_7:
	s_or_b64 exec, exec, s[2:3]
	v_mad_u64_u32 v[20:21], s[2:3], v68, 24, s[10:11]
	s_mov_b64 s[16:17], 0x1760
	v_add_co_u32_e64 v22, s[2:3], s14, v20
	global_load_dwordx4 v[36:39], v[20:21], off offset:2816
	global_load_dwordx2 v[94:95], v[20:21], off offset:2832
	v_addc_co_u32_e64 v23, s[2:3], 0, v21, s[2:3]
	v_lshl_add_u64 v[20:21], v[20:21], 0, s[16:17]
	global_load_dwordx4 v[40:43], v[22:23], off offset:1888
	global_load_dwordx2 v[96:97], v[20:21], off offset:16
	v_add_u32_e32 v20, 0xffffff9d, v68
	v_cndmask_b32_e64 v20, v20, v92, s[0:1]
	v_mul_hi_i32_i24_e32 v21, 24, v20
	v_mul_i32_i24_e32 v20, 24, v20
	v_lshl_add_u64 v[108:109], s[10:11], 0, v[20:21]
	global_load_dwordx4 v[20:23], v[108:109], off offset:2816
	global_load_dwordx2 v[92:93], v[108:109], off offset:2832
	s_waitcnt lgkmcnt(0)
	v_mov_b32_e32 v108, v101
	s_waitcnt vmcnt(5)
	v_pk_mul_f32 v[110:111], v[56:57], v[36:37] op_sel:[0,1]
	v_mov_b32_e32 v112, v39
	s_waitcnt vmcnt(4)
	v_pk_mul_f32 v[114:115], v[60:61], v[94:95] op_sel:[0,1]
	v_pk_fma_f32 v[116:117], v[56:57], v[36:37], v[110:111] op_sel:[0,0,1] op_sel_hi:[1,1,0] neg_lo:[0,0,1] neg_hi:[0,0,1]
	v_pk_fma_f32 v[56:57], v[56:57], v[36:37], v[110:111] op_sel:[0,0,1] op_sel_hi:[1,0,0]
	v_pk_mul_f32 v[110:111], v[52:53], v[112:113] op_sel_hi:[1,0]
	v_pk_fma_f32 v[112:113], v[60:61], v[94:95], v[114:115] op_sel:[0,0,1] op_sel_hi:[1,1,0] neg_lo:[0,0,1] neg_hi:[0,0,1]
	v_pk_fma_f32 v[60:61], v[60:61], v[94:95], v[114:115] op_sel:[0,0,1] op_sel_hi:[1,0,0]
	s_waitcnt vmcnt(3)
	v_pk_mul_f32 v[114:115], v[58:59], v[40:41] op_sel:[0,1]
	v_mov_b32_e32 v56, v43
	s_waitcnt vmcnt(2)
	v_pk_mul_f32 v[118:119], v[62:63], v[96:97] op_sel:[0,1]
	v_mov_b32_e32 v117, v57
	v_mov_b32_e32 v113, v61
	v_pk_fma_f32 v[60:61], v[58:59], v[40:41], v[114:115] op_sel:[0,0,1] op_sel_hi:[1,1,0] neg_lo:[0,0,1] neg_hi:[0,0,1]
	v_pk_fma_f32 v[58:59], v[58:59], v[40:41], v[114:115] op_sel:[0,0,1] op_sel_hi:[1,0,0]
	v_pk_mul_f32 v[56:57], v[54:55], v[56:57] op_sel_hi:[1,0]
	v_pk_fma_f32 v[120:121], v[52:53], v[38:39], v[110:111] op_sel:[0,0,1] op_sel_hi:[1,1,0] neg_lo:[0,0,1] neg_hi:[0,0,1]
	v_pk_fma_f32 v[52:53], v[52:53], v[38:39], v[110:111] op_sel:[0,0,1] op_sel_hi:[1,0,0]
	v_pk_fma_f32 v[110:111], v[62:63], v[96:97], v[118:119] op_sel:[0,0,1] op_sel_hi:[1,1,0] neg_lo:[0,0,1] neg_hi:[0,0,1]
	v_pk_fma_f32 v[62:63], v[62:63], v[96:97], v[118:119] op_sel:[0,0,1] op_sel_hi:[1,0,0]
	s_waitcnt vmcnt(1)
	v_pk_mul_f32 v[114:115], v[106:107], v[20:21] op_sel_hi:[0,1]
	v_pk_mul_f32 v[118:119], v[104:105], v[22:23] op_sel:[1,0]
	s_waitcnt vmcnt(0)
	v_pk_mul_f32 v[122:123], v[100:101], v[92:93] op_sel_hi:[0,1]
	v_mov_b32_e32 v61, v59
	v_pk_fma_f32 v[58:59], v[54:55], v[42:43], v[56:57] op_sel:[0,0,1] op_sel_hi:[1,1,0] neg_lo:[0,0,1] neg_hi:[0,0,1]
	v_pk_fma_f32 v[54:55], v[54:55], v[42:43], v[56:57] op_sel:[0,0,1] op_sel_hi:[1,0,0]
	v_mov_b32_e32 v121, v53
	v_mov_b32_e32 v111, v63
	v_pk_fma_f32 v[56:57], v[106:107], v[20:21], v[114:115] op_sel:[0,0,1] op_sel_hi:[1,1,0] neg_lo:[1,0,0] neg_hi:[1,0,0]
	v_pk_fma_f32 v[52:53], v[106:107], v[20:21], v[114:115] op_sel:[1,0,1] op_sel_hi:[1,1,0]
	v_pk_fma_f32 v[62:63], v[104:105], v[22:23], v[118:119] op_sel:[0,0,1] op_sel_hi:[0,1,0]
	v_pk_fma_f32 v[104:105], v[104:105], v[22:23], v[118:119] op_sel:[0,0,1] op_sel_hi:[0,1,0] neg_lo:[0,0,1] neg_hi:[0,0,1]
	v_pk_fma_f32 v[100:101], v[100:101], v[92:93], v[122:123] op_sel:[0,0,1] op_sel_hi:[1,1,0] neg_lo:[1,0,0] neg_hi:[1,0,0]
	v_pk_fma_f32 v[106:107], v[108:109], v[92:93], v[122:123] op_sel:[0,0,1] op_sel_hi:[0,1,0]
	v_mov_b32_e32 v59, v55
	v_pk_add_f32 v[112:113], v[116:117], v[112:113] neg_lo:[0,1] neg_hi:[0,1]
	v_pk_add_f32 v[108:109], v[48:49], v[120:121] neg_lo:[0,1] neg_hi:[0,1]
	;; [unrolled: 1-line block ×3, first 2 shown]
	v_mov_b32_e32 v53, v57
	v_mov_b32_e32 v105, v63
	v_mov_b32_e32 v107, v101
	v_pk_add_f32 v[58:59], v[50:51], v[58:59] neg_lo:[0,1] neg_hi:[0,1]
	v_pk_fma_f32 v[114:115], v[116:117], 2.0, v[112:113] op_sel_hi:[1,0,1] neg_lo:[0,0,1] neg_hi:[0,0,1]
	v_pk_fma_f32 v[56:57], v[48:49], 2.0, v[108:109] op_sel_hi:[1,0,1] neg_lo:[0,0,1] neg_hi:[0,0,1]
	v_pk_add_f32 v[62:63], v[108:109], v[112:113] op_sel:[0,1] op_sel_hi:[1,0] neg_lo:[0,1] neg_hi:[0,1]
	v_pk_add_f32 v[100:101], v[108:109], v[112:113] op_sel:[0,1] op_sel_hi:[1,0]
	v_pk_fma_f32 v[60:61], v[60:61], 2.0, v[110:111] op_sel_hi:[1,0,1] neg_lo:[0,0,1] neg_hi:[0,0,1]
	v_pk_add_f32 v[48:49], v[102:103], v[104:105] neg_lo:[0,1] neg_hi:[0,1]
	v_pk_add_f32 v[54:55], v[52:53], v[106:107] neg_lo:[0,1] neg_hi:[0,1]
	v_pk_fma_f32 v[50:51], v[50:51], 2.0, v[58:59] op_sel_hi:[1,0,1] neg_lo:[0,0,1] neg_hi:[0,0,1]
	v_pk_add_f32 v[104:105], v[56:57], v[114:115] neg_lo:[0,1] neg_hi:[0,1]
	v_mov_b32_e32 v63, v101
	v_pk_add_f32 v[106:107], v[58:59], v[110:111] op_sel:[0,1] op_sel_hi:[1,0] neg_lo:[0,1] neg_hi:[0,1]
	v_pk_add_f32 v[110:111], v[58:59], v[110:111] op_sel:[0,1] op_sel_hi:[1,0]
	v_pk_add_f32 v[112:113], v[48:49], v[54:55]
	v_pk_add_f32 v[100:101], v[48:49], v[54:55] neg_lo:[0,1] neg_hi:[0,1]
	v_pk_add_f32 v[60:61], v[50:51], v[60:61] neg_lo:[0,1] neg_hi:[0,1]
	v_pk_fma_f32 v[56:57], v[56:57], 2.0, v[104:105] op_sel_hi:[1,0,1] neg_lo:[0,0,1] neg_hi:[0,0,1]
	v_pk_fma_f32 v[108:109], v[108:109], 2.0, v[62:63] op_sel_hi:[1,0,1] neg_lo:[0,0,1] neg_hi:[0,0,1]
	v_mov_b32_e32 v107, v111
	v_mov_b32_e32 v101, v113
	v_pk_fma_f32 v[50:51], v[50:51], 2.0, v[60:61] op_sel_hi:[1,0,1] neg_lo:[0,0,1] neg_hi:[0,0,1]
	ds_write_b64 v64, v[104:105] offset:5808
	ds_write_b64 v64, v[62:63] offset:8712
	;; [unrolled: 1-line block ×3, first 2 shown]
	v_pk_fma_f32 v[58:59], v[58:59], 2.0, v[106:107] op_sel_hi:[1,0,1] neg_lo:[0,0,1] neg_hi:[0,0,1]
	ds_write2_b64 v64, v[56:57], v[50:51] offset1:132
	ds_write_b64 v64, v[58:59] offset:3960
	ds_write_b64 v64, v[60:61] offset:6864
	;; [unrolled: 1-line block ×3, first 2 shown]
	s_and_saveexec_b64 s[2:3], s[0:1]
	s_cbranch_execz .LBB0_9
; %bb.8:
	v_pk_fma_f32 v[50:51], v[102:103], 2.0, v[48:49] op_sel_hi:[1,0,1] neg_lo:[0,0,1] neg_hi:[0,0,1]
	v_pk_fma_f32 v[52:53], v[52:53], 2.0, v[54:55] op_sel_hi:[1,0,1] neg_lo:[0,0,1] neg_hi:[0,0,1]
	;; [unrolled: 1-line block ×3, first 2 shown]
	v_pk_add_f32 v[52:53], v[50:51], v[52:53] op_sel:[0,1] op_sel_hi:[1,0] neg_lo:[0,1] neg_hi:[0,1]
	s_nop 0
	v_pk_fma_f32 v[50:51], v[50:51], 2.0, v[52:53] op_sel_hi:[1,0,1] neg_lo:[0,0,1] neg_hi:[0,0,1]
	ds_write_b64 v64, v[50:51] offset:2112
	ds_write_b64 v64, v[48:49] offset:5016
	;; [unrolled: 1-line block ×4, first 2 shown]
.LBB0_9:
	s_or_b64 exec, exec, s[2:3]
	v_mov_b32_e32 v65, 0
	v_lshl_add_u64 v[48:49], s[8:9], 0, v[64:65]
	s_mov_b64 s[8:9], 0x2d60
	s_movk_i32 s2, 0x2000
	v_lshl_add_u64 v[52:53], v[48:49], 0, s[8:9]
	s_waitcnt lgkmcnt(0)
	s_barrier
	v_add_co_u32_e64 v50, s[2:3], s2, v48
	global_load_dwordx2 v[54:55], v[52:53], off offset:1056
	s_nop 0
	v_addc_co_u32_e64 v51, s[2:3], 0, v49, s[2:3]
	global_load_dwordx2 v[56:57], v[50:51], off offset:3424
	global_load_dwordx2 v[112:113], v[52:53], off offset:2112
	global_load_dwordx2 v[114:115], v[52:53], off offset:3168
	s_movk_i32 s2, 0x3000
	v_add_co_u32_e64 v50, s[2:3], s2, v48
	v_mov_b32_e32 v102, v12
	s_nop 0
	v_addc_co_u32_e64 v51, s[2:3], 0, v49, s[2:3]
	s_movk_i32 s2, 0x4000
	global_load_dwordx2 v[116:117], v[50:51], off offset:3552
	v_add_co_u32_e64 v50, s[2:3], s2, v48
	v_mov_b32_e32 v103, v12
	s_nop 0
	v_addc_co_u32_e64 v51, s[2:3], 0, v49, s[2:3]
	global_load_dwordx2 v[118:119], v[50:51], off offset:512
	global_load_dwordx2 v[120:121], v[50:51], off offset:1568
	;; [unrolled: 1-line block ×3, first 2 shown]
	s_movk_i32 s2, 0x5000
	v_add_co_u32_e64 v48, s[2:3], s2, v48
	global_load_dwordx2 v[124:125], v[50:51], off offset:3680
	s_nop 0
	v_addc_co_u32_e64 v49, s[2:3], 0, v49, s[2:3]
	global_load_dwordx2 v[126:127], v[48:49], off offset:640
	global_load_dwordx2 v[128:129], v[48:49], off offset:1696
	ds_read2_b64 v[48:51], v64 offset1:132
	v_add_u32_e32 v12, 0x800, v64
	v_add_u32_e32 v31, 0x1000, v64
	;; [unrolled: 1-line block ×4, first 2 shown]
	s_mov_b32 s14, 0x3f68dda4
	s_mov_b32 s10, 0x3ed4b147
	;; [unrolled: 1-line block ×19, first 2 shown]
	v_mov_b32_e32 v110, v4
	v_mov_b32_e32 v111, v4
	;; [unrolled: 1-line block ×12, first 2 shown]
	s_waitcnt vmcnt(10) lgkmcnt(0)
	v_mul_f32_e32 v52, v51, v55
	v_mul_f32_e32 v53, v50, v55
	s_waitcnt vmcnt(9)
	v_mul_f32_e32 v58, v49, v57
	v_mul_f32_e32 v55, v48, v57
	v_fma_f32 v52, v50, v54, -v52
	v_fmac_f32_e32 v53, v51, v54
	v_fma_f32 v54, v48, v56, -v58
	v_fmac_f32_e32 v55, v49, v56
	ds_write2_b64 v64, v[54:55], v[52:53] offset1:132
	ds_read2_b64 v[48:51], v12 offset0:8 offset1:140
	ds_read2_b64 v[52:55], v31 offset0:16 offset1:148
	;; [unrolled: 1-line block ×4, first 2 shown]
	s_waitcnt vmcnt(6) lgkmcnt(2)
	v_mul_f32_e32 v133, v53, v117
	v_mul_f32_e32 v130, v49, v113
	;; [unrolled: 1-line block ×6, first 2 shown]
	s_waitcnt vmcnt(5)
	v_mul_f32_e32 v134, v55, v119
	v_mul_f32_e32 v117, v54, v119
	v_fma_f32 v130, v48, v112, -v130
	v_fmac_f32_e32 v131, v49, v112
	v_fma_f32 v112, v50, v114, -v132
	v_fmac_f32_e32 v113, v51, v114
	;; [unrolled: 2-line block ×4, first 2 shown]
	ds_write2_b64 v12, v[130:131], v[112:113] offset0:8 offset1:140
	ds_write2_b64 v31, v[114:115], v[116:117] offset0:16 offset1:148
	ds_read_b64 v[50:51], v64 offset:10560
	s_waitcnt vmcnt(4) lgkmcnt(4)
	v_mul_f32_e32 v135, v57, v121
	v_mul_f32_e32 v119, v56, v121
	s_waitcnt vmcnt(3)
	v_mul_f32_e32 v121, v59, v123
	v_mul_f32_e32 v49, v58, v123
	v_fma_f32 v118, v56, v120, -v135
	v_fmac_f32_e32 v119, v57, v120
	v_fma_f32 v48, v58, v122, -v121
	v_fmac_f32_e32 v49, v59, v122
	ds_write2_b64 v65, v[118:119], v[48:49] offset0:24 offset1:156
	s_waitcnt vmcnt(2) lgkmcnt(4)
	v_mul_f32_e32 v48, v61, v125
	v_mul_f32_e32 v49, v60, v125
	s_waitcnt vmcnt(1)
	v_mul_f32_e32 v52, v63, v127
	v_mul_f32_e32 v53, v62, v127
	v_fma_f32 v48, v60, v124, -v48
	v_fmac_f32_e32 v49, v61, v124
	v_fma_f32 v52, v62, v126, -v52
	v_fmac_f32_e32 v53, v63, v126
	ds_write2_b64 v99, v[48:49], v[52:53] offset0:32 offset1:164
	s_waitcnt vmcnt(0) lgkmcnt(2)
	v_mul_f32_e32 v48, v51, v129
	v_mul_f32_e32 v49, v50, v129
	v_fma_f32 v48, v50, v128, -v48
	v_fmac_f32_e32 v49, v51, v128
	ds_write_b64 v64, v[48:49] offset:10560
	s_waitcnt lgkmcnt(0)
	s_barrier
	ds_read2_b64 v[48:51], v64 offset1:132
	ds_read2_b64 v[56:59], v12 offset0:8 offset1:140
	ds_read2_b64 v[114:117], v31 offset0:16 offset1:148
	;; [unrolled: 1-line block ×4, first 2 shown]
	ds_read_b64 v[52:53], v64 offset:10560
	s_waitcnt lgkmcnt(5)
	v_pk_add_f32 v[54:55], v[48:49], v[50:51]
	s_waitcnt lgkmcnt(0)
	v_pk_add_f32 v[54:55], v[54:55], v[56:57]
	v_pk_add_f32 v[128:129], v[58:59], v[60:61] neg_lo:[0,1] neg_hi:[0,1]
	v_pk_add_f32 v[54:55], v[54:55], v[58:59]
	v_pk_add_f32 v[118:119], v[52:53], v[50:51]
	;; [unrolled: 1-line block ×3, first 2 shown]
	v_pk_add_f32 v[120:121], v[50:51], v[52:53] neg_lo:[0,1] neg_hi:[0,1]
	v_pk_add_f32 v[54:55], v[54:55], v[116:117]
	v_pk_add_f32 v[126:127], v[60:61], v[58:59]
	;; [unrolled: 1-line block ×3, first 2 shown]
	v_pk_mul_f32 v[58:59], v[128:129], s[14:15] op_sel_hi:[1,0]
	v_pk_add_f32 v[54:55], v[54:55], v[132:133]
	v_pk_add_f32 v[122:123], v[62:63], v[56:57]
	;; [unrolled: 1-line block ×3, first 2 shown]
	v_pk_add_f32 v[124:125], v[56:57], v[62:63] neg_lo:[0,1] neg_hi:[0,1]
	v_pk_fma_f32 v[60:61], v[126:127], s[10:11], v[58:59] op_sel:[0,0,1] op_sel_hi:[1,0,0]
	v_pk_fma_f32 v[58:59], v[126:127], s[10:11], v[58:59] op_sel:[0,0,1] op_sel_hi:[1,0,0] neg_lo:[0,0,1] neg_hi:[0,0,1]
	v_pk_add_f32 v[150:151], v[130:131], v[116:117]
	v_pk_add_f32 v[130:131], v[116:117], v[130:131] neg_lo:[0,1] neg_hi:[0,1]
	v_mov_b32_e32 v116, v118
	v_mov_b32_e32 v117, v120
	s_mov_b32 s11, s26
	v_mov_b32_e32 v152, v121
	v_mov_b32_e32 v153, v119
	v_pk_mul_f32 v[154:155], v[116:117], s[10:11]
	v_mov_b32_e32 v162, v122
	v_mov_b32_e32 v163, v124
	v_pk_add_f32 v[54:55], v[54:55], v[62:63]
	v_pk_mul_f32 v[50:51], v[120:121], s[8:9] op_sel_hi:[1,0]
	v_pk_fma_f32 v[156:157], v[152:153], s[26:27], v[154:155] neg_lo:[1,0,0] neg_hi:[1,0,0]
	v_pk_fma_f32 v[158:159], v[152:153], s[26:27], v[154:155]
	v_mov_b32_e32 v160, v125
	v_mov_b32_e32 v161, v123
	v_pk_mul_f32 v[164:165], v[162:163], s[30:31]
	v_pk_add_f32 v[134:135], v[54:55], v[52:53]
	v_pk_fma_f32 v[52:53], v[118:119], s[2:3], v[50:51] op_sel:[0,0,1] op_sel_hi:[1,0,0]
	v_pk_fma_f32 v[50:51], v[118:119], s[2:3], v[50:51] op_sel:[0,0,1] op_sel_hi:[1,0,0] neg_lo:[0,0,1] neg_hi:[0,0,1]
	v_pk_mul_f32 v[54:55], v[124:125], s[24:25] op_sel_hi:[1,0]
	v_mov_b32_e32 v157, v159
	v_pk_fma_f32 v[166:167], v[160:161], s[20:21], v[164:165] neg_lo:[1,0,0] neg_hi:[1,0,0]
	v_pk_fma_f32 v[168:169], v[160:161], s[20:21], v[164:165]
	v_mov_b32_e32 v112, v52
	v_mov_b32_e32 v113, v51
	v_pk_fma_f32 v[56:57], v[122:123], s[16:17], v[54:55] op_sel:[0,0,1] op_sel_hi:[1,0,0]
	v_pk_fma_f32 v[54:55], v[122:123], s[16:17], v[54:55] op_sel:[0,0,1] op_sel_hi:[1,0,0] neg_lo:[0,0,1] neg_hi:[0,0,1]
	v_pk_add_f32 v[156:157], v[48:49], v[156:157]
	v_mov_b32_e32 v167, v169
	v_mov_b32_e32 v142, v56
	v_mov_b32_e32 v143, v55
	v_pk_add_f32 v[112:113], v[48:49], v[112:113]
	v_pk_add_f32 v[156:157], v[166:167], v[156:157]
	v_mov_b32_e32 v166, v126
	v_mov_b32_e32 v167, v128
	s_mov_b32 s17, s24
	v_pk_add_f32 v[112:113], v[142:143], v[112:113]
	v_mov_b32_e32 v142, v129
	v_mov_b32_e32 v143, v127
	s_mov_b32 s25, s16
	v_pk_mul_f32 v[170:171], v[166:167], s[16:17]
	v_pk_add_f32 v[146:147], v[132:133], v[114:115]
	v_pk_fma_f32 v[172:173], v[142:143], s[24:25], v[170:171] neg_lo:[1,0,0] neg_hi:[1,0,0]
	v_pk_fma_f32 v[174:175], v[142:143], s[24:25], v[170:171]
	v_pk_add_f32 v[132:133], v[114:115], v[132:133] neg_lo:[0,1] neg_hi:[0,1]
	v_mov_b32_e32 v173, v175
	v_mov_b32_e32 v144, v60
	;; [unrolled: 1-line block ×3, first 2 shown]
	v_pk_add_f32 v[156:157], v[172:173], v[156:157]
	v_mov_b32_e32 v172, v146
	v_mov_b32_e32 v173, v132
	s_mov_b32 s3, s28
	v_pk_add_f32 v[112:113], v[144:145], v[112:113]
	v_mov_b32_e32 v144, v133
	v_mov_b32_e32 v145, v147
	v_pk_mul_f32 v[176:177], v[172:173], s[2:3]
	v_pk_mul_f32 v[62:63], v[132:133], s[22:23] op_sel_hi:[1,0]
	v_pk_fma_f32 v[178:179], v[144:145], s[28:29], v[176:177] neg_lo:[1,0,0] neg_hi:[1,0,0]
	v_pk_fma_f32 v[180:181], v[144:145], s[28:29], v[176:177]
	v_pk_fma_f32 v[114:115], v[146:147], s[18:19], v[62:63] op_sel:[0,0,1] op_sel_hi:[1,0,0]
	v_pk_fma_f32 v[62:63], v[146:147], s[18:19], v[62:63] op_sel:[0,0,1] op_sel_hi:[1,0,0] neg_lo:[0,0,1] neg_hi:[0,0,1]
	v_mov_b32_e32 v179, v181
	s_mov_b32 s19, s22
	v_pk_mul_f32 v[162:163], v[162:163], s[10:11]
	s_mov_b32 s3, s8
	v_pk_add_f32 v[156:157], v[178:179], v[156:157]
	v_pk_mul_f32 v[178:179], v[116:117], s[18:19]
	v_pk_fma_f32 v[116:117], v[160:161], s[26:27], v[162:163] neg_lo:[1,0,0] neg_hi:[1,0,0]
	v_pk_fma_f32 v[184:185], v[160:161], s[26:27], v[162:163]
	s_mov_b32 s9, s2
	v_pk_mul_f32 v[166:167], v[166:167], s[2:3]
	v_pk_mul_f32 v[172:173], v[172:173], s[30:31]
	s_mov_b32 s30, 0xbe903f40
	v_pk_fma_f32 v[162:163], v[160:161], s[26:27], v[162:163] neg_lo:[0,0,1] neg_hi:[0,0,1]
	v_mov_b32_e32 v148, v114
	v_mov_b32_e32 v149, v63
	s_mov_b32 s23, s18
	v_mov_b32_e32 v117, v185
	v_pk_fma_f32 v[186:187], v[142:143], s[8:9], v[166:167] neg_lo:[1,0,0] neg_hi:[1,0,0]
	v_pk_fma_f32 v[188:189], v[142:143], s[8:9], v[166:167]
	v_mov_b32_e32 v196, v150
	v_mov_b32_e32 v197, v130
	s_mov_b32 s17, s30
	v_mov_b32_e32 v185, v163
	v_pk_fma_f32 v[162:163], v[142:143], s[8:9], v[166:167] neg_lo:[0,0,1] neg_hi:[0,0,1]
	v_pk_add_f32 v[148:149], v[148:149], v[112:113]
	v_pk_fma_f32 v[112:113], v[152:153], s[22:23], v[178:179] neg_lo:[1,0,0] neg_hi:[1,0,0]
	v_pk_fma_f32 v[182:183], v[152:153], s[22:23], v[178:179]
	v_mov_b32_e32 v187, v189
	v_pk_fma_f32 v[190:191], v[144:145], s[20:21], v[172:173] neg_lo:[1,0,0] neg_hi:[1,0,0]
	v_pk_fma_f32 v[192:193], v[144:145], s[20:21], v[172:173]
	v_mov_b32_e32 v194, v131
	v_mov_b32_e32 v195, v151
	s_mov_b32 s31, s16
	v_pk_mul_f32 v[198:199], v[196:197], s[16:17]
	v_pk_fma_f32 v[178:179], v[152:153], s[22:23], v[178:179] neg_lo:[0,0,1] neg_hi:[0,0,1]
	v_mov_b32_e32 v189, v163
	v_pk_fma_f32 v[162:163], v[144:145], s[20:21], v[172:173] neg_lo:[0,0,1] neg_hi:[0,0,1]
	v_mov_b32_e32 v113, v183
	v_mov_b32_e32 v191, v193
	v_pk_fma_f32 v[200:201], v[194:195], s[30:31], v[198:199] neg_lo:[1,0,0] neg_hi:[1,0,0]
	v_pk_fma_f32 v[202:203], v[194:195], s[30:31], v[198:199]
	v_mov_b32_e32 v183, v179
	v_mov_b32_e32 v193, v163
	v_pk_fma_f32 v[162:163], v[194:195], s[30:31], v[198:199] neg_lo:[0,0,1] neg_hi:[0,0,1]
	v_mov_b32_e32 v201, v203
	v_mov_b32_e32 v203, v163
	v_pk_add_f32 v[162:163], v[48:49], v[182:183]
	v_pk_add_f32 v[112:113], v[48:49], v[112:113]
	;; [unrolled: 1-line block ×7, first 2 shown]
	s_mov_b32 s19, s34
	v_pk_add_f32 v[162:163], v[202:203], v[162:163]
	s_barrier
	v_pk_add_f32 v[112:113], v[190:191], v[112:113]
	v_pk_mul_f32 v[186:187], v[196:197], s[18:19]
	ds_write2_b64 v77, v[134:135], v[162:163] offset1:1
	v_pk_fma_f32 v[134:135], v[152:153], s[26:27], v[154:155] neg_lo:[0,0,1] neg_hi:[0,0,1]
	v_pk_add_f32 v[116:117], v[200:201], v[112:113]
	v_pk_fma_f32 v[112:113], v[194:195], s[34:35], v[186:187] neg_lo:[1,0,0] neg_hi:[1,0,0]
	v_pk_fma_f32 v[190:191], v[194:195], s[34:35], v[186:187]
	v_mov_b32_e32 v159, v135
	v_pk_fma_f32 v[152:153], v[160:161], s[20:21], v[164:165] neg_lo:[0,0,1] neg_hi:[0,0,1]
	v_mov_b32_e32 v113, v191
	v_pk_add_f32 v[134:135], v[48:49], v[158:159]
	v_mov_b32_e32 v169, v153
	v_pk_fma_f32 v[142:143], v[142:143], s[24:25], v[170:171] neg_lo:[0,0,1] neg_hi:[0,0,1]
	v_pk_add_f32 v[112:113], v[112:113], v[156:157]
	v_pk_mul_f32 v[156:157], v[130:131], s[20:21] op_sel_hi:[1,0]
	v_pk_add_f32 v[134:135], v[168:169], v[134:135]
	v_mov_b32_e32 v175, v143
	v_pk_fma_f32 v[142:143], v[144:145], s[28:29], v[176:177] neg_lo:[0,0,1] neg_hi:[0,0,1]
	v_pk_fma_f32 v[196:197], v[150:151], s[36:37], v[156:157] op_sel:[0,0,1] op_sel_hi:[1,0,0]
	v_pk_fma_f32 v[156:157], v[150:151], s[36:37], v[156:157] op_sel:[0,0,1] op_sel_hi:[1,0,0] neg_lo:[0,0,1] neg_hi:[0,0,1]
	v_pk_add_f32 v[134:135], v[174:175], v[134:135]
	v_mov_b32_e32 v181, v143
	v_pk_fma_f32 v[142:143], v[194:195], s[34:35], v[186:187] neg_lo:[0,0,1] neg_hi:[0,0,1]
	v_mov_b32_e32 v200, v196
	v_mov_b32_e32 v201, v157
	v_pk_add_f32 v[134:135], v[180:181], v[134:135]
	v_mov_b32_e32 v191, v143
	v_pk_add_f32 v[148:149], v[200:201], v[148:149]
	v_pk_add_f32 v[134:135], v[190:191], v[134:135]
	ds_write2_b64 v77, v[134:135], v[148:149] offset0:2 offset1:3
	v_pk_mul_f32 v[134:135], v[120:121], s[20:21] op_sel_hi:[1,0]
	v_pk_mul_f32 v[148:149], v[124:125], s[28:29] op_sel_hi:[1,0]
	v_pk_fma_f32 v[142:143], v[118:119], s[36:37], v[134:135] op_sel:[0,0,1] op_sel_hi:[1,0,0]
	v_pk_fma_f32 v[134:135], v[118:119], s[36:37], v[134:135] op_sel:[0,0,1] op_sel_hi:[1,0,0] neg_lo:[0,0,1] neg_hi:[0,0,1]
	v_mov_b32_e32 v144, v142
	v_mov_b32_e32 v145, v135
	v_pk_fma_f32 v[152:153], v[122:123], s[2:3], v[148:149] op_sel:[0,0,1] op_sel_hi:[1,0,0]
	v_pk_fma_f32 v[148:149], v[122:123], s[2:3], v[148:149] op_sel:[0,0,1] op_sel_hi:[1,0,0] neg_lo:[0,0,1] neg_hi:[0,0,1]
	v_pk_mul_f32 v[158:159], v[128:129], s[22:23] op_sel_hi:[1,0]
	v_mov_b32_e32 v154, v152
	v_mov_b32_e32 v155, v149
	v_pk_fma_f32 v[160:161], v[126:127], s[18:19], v[158:159] op_sel:[0,0,1] op_sel_hi:[1,0,0]
	v_pk_fma_f32 v[158:159], v[126:127], s[18:19], v[158:159] op_sel:[0,0,1] op_sel_hi:[1,0,0] neg_lo:[0,0,1] neg_hi:[0,0,1]
	v_pk_mul_f32 v[164:165], v[132:133], s[30:31] op_sel_hi:[1,0]
	v_pk_add_f32 v[144:145], v[48:49], v[144:145]
	v_mov_b32_e32 v162, v160
	v_mov_b32_e32 v163, v159
	v_pk_fma_f32 v[166:167], v[146:147], s[16:17], v[164:165] op_sel:[0,0,1] op_sel_hi:[1,0,0]
	v_pk_fma_f32 v[164:165], v[146:147], s[16:17], v[164:165] op_sel:[0,0,1] op_sel_hi:[1,0,0] neg_lo:[0,0,1] neg_hi:[0,0,1]
	v_pk_add_f32 v[144:145], v[154:155], v[144:145]
	v_pk_mul_f32 v[154:155], v[130:131], s[14:15] op_sel_hi:[1,0]
	v_mov_b32_e32 v168, v166
	v_mov_b32_e32 v169, v165
	v_pk_add_f32 v[144:145], v[162:163], v[144:145]
	v_pk_fma_f32 v[162:163], v[150:151], s[10:11], v[154:155] op_sel:[0,0,1] op_sel_hi:[1,0,0]
	v_pk_fma_f32 v[154:155], v[150:151], s[10:11], v[154:155] op_sel:[0,0,1] op_sel_hi:[1,0,0] neg_lo:[0,0,1] neg_hi:[0,0,1]
	v_pk_add_f32 v[144:145], v[168:169], v[144:145]
	v_mov_b32_e32 v168, v162
	v_mov_b32_e32 v169, v155
	v_pk_mul_f32 v[120:121], v[120:121], s[30:31] op_sel_hi:[1,0]
	v_pk_add_f32 v[144:145], v[168:169], v[144:145]
	v_pk_fma_f32 v[168:169], v[118:119], s[16:17], v[120:121] op_sel:[0,0,1] op_sel_hi:[1,0,0]
	v_pk_fma_f32 v[118:119], v[118:119], s[16:17], v[120:121] op_sel:[0,0,1] op_sel_hi:[1,0,0] neg_lo:[0,0,1] neg_hi:[0,0,1]
	v_pk_mul_f32 v[124:125], v[124:125], s[34:35] op_sel_hi:[1,0]
	v_mov_b32_e32 v120, v168
	v_mov_b32_e32 v121, v119
	v_pk_fma_f32 v[170:171], v[122:123], s[18:19], v[124:125] op_sel:[0,0,1] op_sel_hi:[1,0,0]
	v_pk_fma_f32 v[122:123], v[122:123], s[18:19], v[124:125] op_sel:[0,0,1] op_sel_hi:[1,0,0] neg_lo:[0,0,1] neg_hi:[0,0,1]
	v_pk_mul_f32 v[128:129], v[128:129], s[20:21] op_sel_hi:[1,0]
	v_mov_b32_e32 v124, v170
	v_mov_b32_e32 v125, v123
	v_pk_fma_f32 v[172:173], v[126:127], s[36:37], v[128:129] op_sel:[0,0,1] op_sel_hi:[1,0,0]
	v_pk_fma_f32 v[126:127], v[126:127], s[36:37], v[128:129] op_sel:[0,0,1] op_sel_hi:[1,0,0] neg_lo:[0,0,1] neg_hi:[0,0,1]
	v_pk_mul_f32 v[132:133], v[132:133], s[14:15] op_sel_hi:[1,0]
	v_pk_add_f32 v[120:121], v[48:49], v[120:121]
	v_mov_b32_e32 v128, v172
	v_mov_b32_e32 v129, v127
	v_pk_fma_f32 v[174:175], v[146:147], s[10:11], v[132:133] op_sel:[0,0,1] op_sel_hi:[1,0,0]
	v_pk_fma_f32 v[132:133], v[146:147], s[10:11], v[132:133] op_sel:[0,0,1] op_sel_hi:[1,0,0] neg_lo:[0,0,1] neg_hi:[0,0,1]
	v_pk_add_f32 v[120:121], v[124:125], v[120:121]
	v_pk_mul_f32 v[124:125], v[130:131], s[8:9] op_sel_hi:[1,0]
	v_mov_b32_e32 v146, v174
	v_mov_b32_e32 v147, v133
	v_pk_add_f32 v[120:121], v[128:129], v[120:121]
	v_pk_fma_f32 v[128:129], v[150:151], s[2:3], v[124:125] op_sel:[0,0,1] op_sel_hi:[1,0,0]
	v_pk_fma_f32 v[124:125], v[150:151], s[2:3], v[124:125] op_sel:[0,0,1] op_sel_hi:[1,0,0] neg_lo:[0,0,1] neg_hi:[0,0,1]
	v_pk_add_f32 v[120:121], v[146:147], v[120:121]
	v_mov_b32_e32 v130, v128
	v_mov_b32_e32 v131, v125
	v_pk_add_f32 v[120:121], v[130:131], v[120:121]
	v_mov_b32_e32 v119, v169
	v_mov_b32_e32 v135, v143
	;; [unrolled: 1-line block ×3, first 2 shown]
	ds_write2_b64 v77, v[144:145], v[120:121] offset0:4 offset1:5
	v_mov_b32_e32 v123, v171
	v_pk_add_f32 v[118:119], v[48:49], v[118:119]
	v_mov_b32_e32 v149, v153
	v_pk_add_f32 v[120:121], v[48:49], v[134:135]
	;; [unrolled: 2-line block ×9, first 2 shown]
	v_pk_add_f32 v[118:119], v[132:133], v[118:119]
	v_mov_b32_e32 v125, v129
	v_pk_add_f32 v[120:121], v[164:165], v[120:121]
	v_mov_b32_e32 v155, v163
	;; [unrolled: 2-line block ×3, first 2 shown]
	v_pk_add_f32 v[118:119], v[124:125], v[118:119]
	v_pk_add_f32 v[120:121], v[154:155], v[120:121]
	;; [unrolled: 1-line block ×3, first 2 shown]
	ds_write2_b64 v77, v[118:119], v[120:121] offset0:6 offset1:7
	ds_write2_b64 v77, v[48:49], v[112:113] offset0:8 offset1:9
	ds_write_b64 v77, v[116:117] offset:80
	s_waitcnt lgkmcnt(0)
	s_barrier
	ds_read2_b64 v[56:59], v64 offset1:132
	ds_read2_b64 v[48:51], v12 offset0:8 offset1:228
	v_add_u32_e32 v12, 0x1c00, v64
	ds_read2_b64 v[60:63], v12 offset0:72 offset1:204
	ds_read2_b64 v[52:55], v31 offset0:104 offset1:236
	ds_read_b64 v[132:133], v64 offset:9856
	v_mov_b32_e32 v12, v13
	v_mov_b32_e32 v134, v14
	;; [unrolled: 1-line block ×4, first 2 shown]
	s_and_saveexec_b64 s[2:3], vcc
	s_cbranch_execz .LBB0_11
; %bb.10:
	ds_read_b64 v[112:113], v64 offset:3168
	ds_read_b64 v[116:117], v64 offset:7040
	ds_read_b64 v[100:101], v64 offset:10912
.LBB0_11:
	s_or_b64 exec, exec, s[2:3]
	s_waitcnt lgkmcnt(3)
	v_pk_mul_f32 v[142:143], v[4:5], v[50:51]
	s_waitcnt lgkmcnt(2)
	v_pk_mul_f32 v[144:145], v[6:7], v[60:61]
	s_waitcnt lgkmcnt(1)
	v_pk_mul_f32 v[6:7], v[0:1], v[116:117] op_sel:[0,1]
	s_waitcnt lgkmcnt(0)
	v_mov_b32_e32 v4, v101
	v_pk_mul_f32 v[146:147], v[2:3], v[4:5] op_sel_hi:[1,0]
	v_pk_fma_f32 v[4:5], v[0:1], v[116:117], v[6:7] op_sel:[0,0,1] op_sel_hi:[1,1,0]
	v_pk_fma_f32 v[0:1], v[0:1], v[116:117], v[6:7] op_sel:[0,0,1] op_sel_hi:[1,0,0] neg_lo:[1,0,0] neg_hi:[1,0,0]
	v_pk_fma_f32 v[116:117], v[110:111], v[50:51], v[142:143] op_sel:[0,0,1] op_sel_hi:[1,1,0]
	v_pk_fma_f32 v[50:51], v[110:111], v[50:51], v[142:143] op_sel:[0,0,1] op_sel_hi:[1,1,0] neg_lo:[0,0,1] neg_hi:[0,0,1]
	s_mov_b32 s2, 0x3f5db3d7
	v_mov_b32_e32 v117, v51
	v_pk_fma_f32 v[50:51], v[108:109], v[60:61], v[144:145] op_sel:[0,0,1] op_sel_hi:[1,1,0]
	v_pk_fma_f32 v[60:61], v[108:109], v[60:61], v[144:145] op_sel:[0,0,1] op_sel_hi:[1,1,0] neg_lo:[0,0,1] neg_hi:[0,0,1]
	v_pk_mul_f32 v[8:9], v[8:9], v[52:53]
	v_mov_b32_e32 v51, v61
	v_pk_add_f32 v[60:61], v[56:57], v[116:117]
	v_pk_add_f32 v[108:109], v[116:117], v[50:51]
	;; [unrolled: 1-line block ×3, first 2 shown]
	v_pk_add_f32 v[50:51], v[116:117], v[50:51] neg_lo:[0,1] neg_hi:[0,1]
	v_pk_fma_f32 v[56:57], v[108:109], 0.5, v[56:57] op_sel_hi:[1,0,1] neg_lo:[1,0,0] neg_hi:[1,0,0]
	v_pk_mul_f32 v[50:51], v[50:51], s[2:3] op_sel_hi:[1,0]
	v_pk_mul_f32 v[10:11], v[10:11], v[62:63]
	v_pk_add_f32 v[108:109], v[56:57], v[50:51] op_sel:[0,1] op_sel_hi:[1,0] neg_lo:[0,1] neg_hi:[0,1]
	v_pk_add_f32 v[50:51], v[56:57], v[50:51] op_sel:[0,1] op_sel_hi:[1,0]
	s_nop 0
	v_mov_b32_e32 v57, v51
	v_mov_b32_e32 v51, v109
	s_barrier
	ds_write_b64 v139, v[50:51] offset:176
	v_pk_fma_f32 v[50:51], v[106:107], v[52:53], v[8:9] op_sel:[0,0,1] op_sel_hi:[1,1,0]
	v_pk_fma_f32 v[8:9], v[106:107], v[52:53], v[8:9] op_sel:[0,0,1] op_sel_hi:[1,1,0] neg_lo:[0,0,1] neg_hi:[0,0,1]
	v_mov_b32_e32 v56, v108
	v_mov_b32_e32 v51, v9
	v_pk_fma_f32 v[8:9], v[104:105], v[62:63], v[10:11] op_sel:[0,0,1] op_sel_hi:[1,1,0]
	v_pk_fma_f32 v[10:11], v[104:105], v[62:63], v[10:11] op_sel:[0,0,1] op_sel_hi:[1,1,0] neg_lo:[0,0,1] neg_hi:[0,0,1]
	ds_write2_b64 v139, v[60:61], v[56:57] offset1:11
	v_mov_b32_e32 v9, v11
	v_pk_add_f32 v[10:11], v[50:51], v[8:9]
	v_pk_add_f32 v[52:53], v[50:51], v[8:9] neg_lo:[0,1] neg_hi:[0,1]
	v_pk_fma_f32 v[10:11], v[10:11], 0.5, v[58:59] op_sel_hi:[1,0,1] neg_lo:[1,0,0] neg_hi:[1,0,0]
	v_pk_mul_f32 v[52:53], v[52:53], s[2:3] op_sel_hi:[1,0]
	v_pk_add_f32 v[50:51], v[58:59], v[50:51]
	v_pk_add_f32 v[56:57], v[10:11], v[52:53] op_sel:[0,1] op_sel_hi:[1,0]
	v_pk_add_f32 v[10:11], v[10:11], v[52:53] op_sel:[0,1] op_sel_hi:[1,0] neg_lo:[0,1] neg_hi:[0,1]
	v_pk_mul_f32 v[12:13], v[12:13], v[54:55]
	v_pk_add_f32 v[8:9], v[50:51], v[8:9]
	v_mov_b32_e32 v50, v10
	v_mov_b32_e32 v51, v57
	v_pk_mul_f32 v[14:15], v[14:15], v[132:133]
	v_mov_b32_e32 v5, v1
	v_pk_fma_f32 v[0:1], v[2:3], v[100:101], v[146:147] op_sel:[0,0,1] op_sel_hi:[1,1,0]
	v_pk_fma_f32 v[2:3], v[2:3], v[100:101], v[146:147] op_sel:[0,0,1] op_sel_hi:[1,0,0] neg_lo:[1,0,0] neg_hi:[1,0,0]
	ds_write2_b64 v138, v[8:9], v[50:51] offset1:11
	v_mov_b32_e32 v57, v11
	v_pk_fma_f32 v[8:9], v[102:103], v[54:55], v[12:13] op_sel:[0,0,1] op_sel_hi:[1,1,0]
	v_pk_fma_f32 v[10:11], v[102:103], v[54:55], v[12:13] op_sel:[0,0,1] op_sel_hi:[1,1,0] neg_lo:[0,0,1] neg_hi:[0,0,1]
	v_mov_b32_e32 v1, v3
	v_mov_b32_e32 v9, v11
	v_pk_fma_f32 v[10:11], v[134:135], v[132:133], v[14:15] op_sel:[0,0,1] op_sel_hi:[1,1,0]
	v_pk_fma_f32 v[12:13], v[134:135], v[132:133], v[14:15] op_sel:[0,0,1] op_sel_hi:[1,1,0] neg_lo:[0,0,1] neg_hi:[0,0,1]
	v_pk_add_f32 v[2:3], v[0:1], v[4:5]
	v_mov_b32_e32 v11, v13
	v_pk_fma_f32 v[6:7], v[2:3], 0.5, v[112:113] op_sel_hi:[1,0,1] neg_lo:[1,0,0] neg_hi:[1,0,0]
	v_pk_add_f32 v[2:3], v[4:5], v[0:1] neg_lo:[0,1] neg_hi:[0,1]
	v_pk_add_f32 v[12:13], v[8:9], v[10:11]
	v_pk_add_f32 v[14:15], v[8:9], v[10:11] neg_lo:[0,1] neg_hi:[0,1]
	v_pk_mul_f32 v[100:101], v[2:3], s[2:3] op_sel_hi:[1,0]
	v_pk_fma_f32 v[12:13], v[12:13], 0.5, v[48:49] op_sel_hi:[1,0,1] neg_lo:[1,0,0] neg_hi:[1,0,0]
	v_pk_mul_f32 v[14:15], v[14:15], s[2:3] op_sel_hi:[1,0]
	v_pk_add_f32 v[2:3], v[6:7], v[100:101] op_sel:[0,1] op_sel_hi:[1,0]
	v_pk_add_f32 v[6:7], v[6:7], v[100:101] op_sel:[0,1] op_sel_hi:[1,0] neg_lo:[0,1] neg_hi:[0,1]
	v_pk_add_f32 v[50:51], v[12:13], v[14:15] op_sel:[0,1] op_sel_hi:[1,0]
	v_pk_add_f32 v[12:13], v[12:13], v[14:15] op_sel:[0,1] op_sel_hi:[1,0] neg_lo:[0,1] neg_hi:[0,1]
	v_pk_add_f32 v[8:9], v[48:49], v[8:9]
	v_mov_b32_e32 v130, v32
	v_mov_b32_e32 v131, v32
	;; [unrolled: 1-line block ×28, first 2 shown]
	v_pk_add_f32 v[8:9], v[8:9], v[10:11]
	v_mov_b32_e32 v10, v12
	v_mov_b32_e32 v11, v51
	;; [unrolled: 1-line block ×3, first 2 shown]
	ds_write_b64 v138, v[56:57] offset:176
	ds_write2_b64 v140, v[8:9], v[10:11] offset1:11
	ds_write_b64 v140, v[50:51] offset:176
	s_and_saveexec_b64 s[2:3], vcc
	s_cbranch_execz .LBB0_13
; %bb.12:
	v_mad_legacy_u16 v2, v136, 33, v137
	v_pk_add_f32 v[4:5], v[4:5], v[112:113]
	v_lshlrev_b32_e32 v2, 3, v2
	v_pk_add_f32 v[0:1], v[0:1], v[4:5]
	v_mov_b32_e32 v7, v3
	ds_write2_b64 v2, v[0:1], v[6:7] offset1:11
	ds_write_b64 v2, v[100:101] offset:176
.LBB0_13:
	s_or_b64 exec, exec, s[2:3]
	s_waitcnt lgkmcnt(0)
	s_barrier
	ds_read2_b64 v[0:3], v64 offset1:132
	v_mov_b32_e32 v8, v29
	v_mov_b32_e32 v48, v42
	;; [unrolled: 1-line block ×3, first 2 shown]
	v_add_u32_e32 v42, 0x800, v64
	s_waitcnt lgkmcnt(0)
	v_pk_mul_f32 v[8:9], v[8:9], v[2:3] op_sel:[0,1] op_sel_hi:[1,0]
	ds_read2_b64 v[4:7], v42 offset0:8 offset1:140
	v_pk_fma_f32 v[62:63], v[28:29], v[2:3], v[8:9]
	v_pk_mul_f32 v[8:9], v[28:29], v[2:3] op_sel:[0,1] op_sel_hi:[1,0]
	v_add_u32_e32 v65, 0x2000, v64
	v_mov_b32_e32 v8, v9
	v_pk_fma_f32 v[28:29], v[28:29], v[2:3], v[8:9] op_sel:[0,1,0] op_sel_hi:[1,0,1] neg_lo:[0,0,1] neg_hi:[0,0,1]
	v_add_u32_e32 v2, 0x1000, v64
	ds_read2_b64 v[8:11], v2 offset0:16 offset1:148
	v_add_u32_e32 v2, 0x1800, v64
	ds_read2_b64 v[12:15], v2 offset0:24 offset1:156
	s_waitcnt lgkmcnt(2)
	v_pk_mul_f32 v[98:99], v[98:99], v[4:5]
	v_pk_mul_f32 v[32:33], v[32:33], v[6:7]
	v_pk_fma_f32 v[102:103], v[30:31], v[4:5], v[98:99] op_sel:[0,0,1] op_sel_hi:[1,1,0]
	v_pk_fma_f32 v[30:31], v[30:31], v[4:5], v[98:99] op_sel:[0,0,1] op_sel_hi:[1,1,0] neg_lo:[0,0,1] neg_hi:[0,0,1]
	s_waitcnt lgkmcnt(0)
	v_pk_mul_f32 v[16:17], v[16:17], v[14:15]
	ds_read2_b64 v[58:61], v65 offset0:32 offset1:164
	ds_read_b64 v[2:3], v64 offset:10560
	v_pk_fma_f32 v[110:111], v[118:119], v[14:15], v[16:17] op_sel:[0,0,1] op_sel_hi:[1,1,0]
	v_pk_fma_f32 v[14:15], v[118:119], v[14:15], v[16:17] op_sel:[0,0,1] op_sel_hi:[1,1,0] neg_lo:[0,0,1] neg_hi:[0,0,1]
	v_mov_b32_e32 v118, v62
	v_mov_b32_e32 v119, v28
	;; [unrolled: 1-line block ×4, first 2 shown]
	v_pk_fma_f32 v[98:99], v[130:131], v[6:7], v[32:33] op_sel:[0,0,1] op_sel_hi:[1,1,0]
	v_pk_fma_f32 v[32:33], v[130:131], v[6:7], v[32:33] op_sel:[0,0,1] op_sel_hi:[1,1,0] neg_lo:[0,0,1] neg_hi:[0,0,1]
	v_pk_mul_f32 v[34:35], v[34:35], v[8:9]
	v_pk_add_f32 v[118:119], v[0:1], v[118:119]
	v_mov_b32_e32 v6, v98
	v_mov_b32_e32 v7, v33
	v_pk_fma_f32 v[104:105], v[128:129], v[8:9], v[34:35] op_sel:[0,0,1] op_sel_hi:[1,1,0]
	v_pk_fma_f32 v[8:9], v[128:129], v[8:9], v[34:35] op_sel:[0,0,1] op_sel_hi:[1,1,0] neg_lo:[0,0,1] neg_hi:[0,0,1]
	v_pk_mul_f32 v[24:25], v[24:25], v[10:11]
	v_pk_add_f32 v[4:5], v[118:119], v[4:5]
	v_mov_b32_e32 v34, v104
	v_mov_b32_e32 v35, v9
	;; [unrolled: 6-line block ×3, first 2 shown]
	v_pk_fma_f32 v[108:109], v[122:123], v[12:13], v[26:27] op_sel:[0,0,1] op_sel_hi:[1,1,0]
	v_pk_fma_f32 v[12:13], v[122:123], v[12:13], v[26:27] op_sel:[0,0,1] op_sel_hi:[1,1,0] neg_lo:[0,0,1] neg_hi:[0,0,1]
	v_pk_add_f32 v[4:5], v[4:5], v[34:35]
	v_mov_b32_e32 v26, v108
	v_mov_b32_e32 v27, v13
	s_waitcnt lgkmcnt(1)
	v_pk_mul_f32 v[18:19], v[18:19], v[58:59]
	v_pk_add_f32 v[4:5], v[4:5], v[24:25]
	v_mov_b32_e32 v16, v110
	v_mov_b32_e32 v17, v15
	v_pk_fma_f32 v[112:113], v[114:115], v[58:59], v[18:19] op_sel:[0,0,1] op_sel_hi:[1,1,0]
	v_pk_fma_f32 v[18:19], v[114:115], v[58:59], v[18:19] op_sel:[0,0,1] op_sel_hi:[1,1,0] neg_lo:[0,0,1] neg_hi:[0,0,1]
	v_pk_mul_f32 v[44:45], v[44:45], v[60:61]
	v_pk_add_f32 v[4:5], v[4:5], v[26:27]
	v_mov_b32_e32 v58, v112
	v_mov_b32_e32 v59, v19
	v_pk_fma_f32 v[114:115], v[124:125], v[60:61], v[44:45] op_sel:[0,0,1] op_sel_hi:[1,1,0]
	v_pk_fma_f32 v[44:45], v[124:125], v[60:61], v[44:45] op_sel:[0,0,1] op_sel_hi:[1,1,0] neg_lo:[0,0,1] neg_hi:[0,0,1]
	s_waitcnt lgkmcnt(0)
	v_pk_mul_f32 v[46:47], v[46:47], v[2:3]
	v_pk_add_f32 v[4:5], v[4:5], v[16:17]
	v_mov_b32_e32 v60, v114
	v_mov_b32_e32 v61, v45
	v_pk_fma_f32 v[116:117], v[120:121], v[2:3], v[46:47] op_sel:[0,0,1] op_sel_hi:[1,1,0]
	v_pk_fma_f32 v[46:47], v[120:121], v[2:3], v[46:47] op_sel:[0,0,1] op_sel_hi:[1,1,0] neg_lo:[0,0,1] neg_hi:[0,0,1]
	v_pk_add_f32 v[4:5], v[4:5], v[58:59]
	v_mov_b32_e32 v2, v116
	v_mov_b32_e32 v3, v47
	v_pk_add_f32 v[4:5], v[4:5], v[60:61]
	s_mov_b32 s8, 0xbf0a6770
	v_pk_add_f32 v[24:25], v[4:5], v[2:3]
	v_pk_add_f32 v[2:3], v[104:105], v[110:111]
	v_pk_add_f32 v[4:5], v[104:105], v[110:111] neg_lo:[0,1] neg_hi:[0,1]
	v_pk_add_f32 v[6:7], v[106:107], v[108:109] neg_lo:[0,1] neg_hi:[0,1]
	v_mov_b32_e32 v3, v4
	v_pk_add_f32 v[4:5], v[106:107], v[108:109]
	v_pk_add_f32 v[26:27], v[8:9], v[14:15] neg_lo:[0,1] neg_hi:[0,1]
	v_pk_add_f32 v[14:15], v[8:9], v[14:15]
	s_mov_b32 s9, 0x3f575c64
	v_mov_b32_e32 v5, v6
	v_pk_add_f32 v[6:7], v[62:63], v[116:117]
	v_pk_add_f32 v[8:9], v[62:63], v[116:117] neg_lo:[0,1] neg_hi:[0,1]
	s_mov_b32 s34, 0xbf68dda4
	s_mov_b32 s2, s9
	;; [unrolled: 1-line block ×3, first 2 shown]
	v_pk_add_f32 v[104:105], v[10:11], v[12:13] neg_lo:[0,1] neg_hi:[0,1]
	v_pk_add_f32 v[12:13], v[10:11], v[12:13]
	v_mov_b32_e32 v7, v8
	v_pk_add_f32 v[62:63], v[28:29], v[46:47] op_sel:[0,1] neg_lo:[0,1] neg_hi:[0,1]
	v_pk_add_f32 v[28:29], v[28:29], v[46:47] op_sel_hi:[0,1]
	v_pk_add_f32 v[8:9], v[102:103], v[114:115]
	v_pk_add_f32 v[10:11], v[102:103], v[114:115] neg_lo:[0,1] neg_hi:[0,1]
	s_mov_b32 s35, 0x3ed4b147
	s_mov_b32 s16, 0xbf7d64f0
	v_mov_b32_e32 v28, v62
	v_pk_mul_f32 v[46:47], v[6:7], s[2:3]
	v_mov_b32_e32 v9, v10
	v_pk_add_f32 v[102:103], v[30:31], v[44:45] neg_lo:[0,1] neg_hi:[0,1]
	v_pk_add_f32 v[30:31], v[30:31], v[44:45]
	s_mov_b32 s30, s35
	s_mov_b32 s31, s34
	v_pk_add_f32 v[10:11], v[98:99], v[112:113]
	v_pk_add_f32 v[98:99], v[98:99], v[112:113] neg_lo:[0,1] neg_hi:[0,1]
	s_mov_b32 s17, 0xbe11bafb
	v_pk_fma_f32 v[16:17], v[62:63], s[8:9], v[46:47] neg_lo:[1,0,0] neg_hi:[1,0,0]
	v_pk_fma_f32 v[106:107], v[28:29], s[8:9], v[46:47]
	v_mov_b32_e32 v30, v103
	v_pk_mul_f32 v[44:45], v[8:9], s[30:31]
	v_mov_b32_e32 v11, v98
	v_pk_add_f32 v[98:99], v[32:33], v[18:19] neg_lo:[0,1] neg_hi:[0,1]
	v_pk_add_f32 v[32:33], v[32:33], v[18:19]
	s_mov_b32 s10, s17
	s_mov_b32 s11, s16
	;; [unrolled: 1-line block ×3, first 2 shown]
	v_mov_b32_e32 v17, v107
	v_pk_fma_f32 v[108:109], v[102:103], s[34:35], v[44:45] op_sel:[1,0,0] neg_lo:[1,0,0] neg_hi:[1,0,0]
	v_pk_fma_f32 v[110:111], v[30:31], s[34:35], v[44:45]
	v_mov_b32_e32 v32, v99
	v_pk_mul_f32 v[112:113], v[10:11], s[10:11]
	s_mov_b32 s25, 0xbf27a4f4
	v_mov_b32_e32 v109, v111
	v_pk_fma_f32 v[18:19], v[98:99], s[16:17], v[112:113] op_sel:[1,0,0] neg_lo:[1,0,0] neg_hi:[1,0,0]
	v_pk_fma_f32 v[114:115], v[32:33], s[16:17], v[112:113]
	v_pk_add_f32 v[16:17], v[0:1], v[16:17]
	s_mov_b32 s36, 0x3e903f40
	s_mov_b32 s18, s25
	;; [unrolled: 1-line block ×3, first 2 shown]
	v_pk_fma_f32 v[46:47], v[28:29], s[8:9], v[46:47] neg_lo:[0,0,1] neg_hi:[0,0,1]
	v_pk_fma_f32 v[44:45], v[30:31], s[34:35], v[44:45] neg_lo:[0,0,1] neg_hi:[0,0,1]
	v_mov_b32_e32 v14, v27
	v_mov_b32_e32 v19, v115
	v_pk_add_f32 v[16:17], v[108:109], v[16:17]
	s_mov_b32 s37, 0xbf75a155
	v_pk_mul_f32 v[126:127], v[2:3], s[18:19]
	s_mov_b32 s28, 0xbe903f40
	v_mov_b32_e32 v107, v47
	v_mov_b32_e32 v111, v45
	v_pk_fma_f32 v[44:45], v[32:33], s[16:17], v[112:113] neg_lo:[0,0,1] neg_hi:[0,0,1]
	v_pk_add_f32 v[16:17], v[18:19], v[16:17]
	v_pk_fma_f32 v[18:19], v[26:27], s[24:25], v[126:127] op_sel:[1,0,0] neg_lo:[1,0,0] neg_hi:[1,0,0]
	v_pk_fma_f32 v[128:129], v[14:15], s[24:25], v[126:127]
	s_mov_b32 s20, s37
	s_mov_b32 s21, s28
	v_mov_b32_e32 v115, v45
	v_pk_add_f32 v[44:45], v[0:1], v[106:107]
	v_mov_b32_e32 v12, v105
	v_mov_b32_e32 v19, v129
	s_mov_b32 s29, s37
	v_pk_mul_f32 v[130:131], v[4:5], s[20:21]
	v_pk_add_f32 v[44:45], v[110:111], v[44:45]
	v_pk_fma_f32 v[46:47], v[14:15], s[24:25], v[126:127] neg_lo:[0,0,1] neg_hi:[0,0,1]
	v_pk_add_f32 v[16:17], v[18:19], v[16:17]
	v_pk_fma_f32 v[18:19], v[104:105], s[28:29], v[130:131] op_sel:[1,0,0] neg_lo:[1,0,0] neg_hi:[1,0,0]
	v_pk_fma_f32 v[132:133], v[12:13], s[28:29], v[130:131]
	s_mov_b32 s40, 0x3f7d64f0
	v_pk_add_f32 v[44:45], v[114:115], v[44:45]
	v_mov_b32_e32 v129, v47
	v_pk_fma_f32 v[46:47], v[12:13], s[28:29], v[130:131] neg_lo:[0,0,1] neg_hi:[0,0,1]
	v_mov_b32_e32 v19, v133
	s_mov_b32 s22, s17
	s_mov_b32 s23, s40
	v_pk_add_f32 v[44:45], v[128:129], v[44:45]
	v_mov_b32_e32 v133, v47
	v_pk_mul_f32 v[34:35], v[2:3], s[2:3]
	s_mov_b32 s41, s17
	v_pk_mul_f32 v[134:135], v[2:3], s[22:23]
	v_pk_add_f32 v[44:45], v[132:133], v[44:45]
	v_pk_fma_f32 v[58:59], v[26:27], s[8:9], v[34:35] op_sel:[1,0,0] neg_lo:[1,0,0] neg_hi:[1,0,0]
	s_mov_b32 s38, s37
	s_mov_b32 s39, s36
	;; [unrolled: 1-line block ×3, first 2 shown]
	v_pk_add_f32 v[16:17], v[18:19], v[16:17]
	v_pk_fma_f32 v[18:19], v[26:27], s[40:41], v[134:135] op_sel:[1,0,0] neg_lo:[1,0,0] neg_hi:[1,0,0]
	v_pk_fma_f32 v[26:27], v[14:15], s[40:41], v[134:135]
	v_pk_mul_f32 v[136:137], v[6:7], s[30:31]
	s_barrier
	ds_write2_b64 v69, v[24:25], v[44:45] offset1:33
	v_pk_fma_f32 v[24:25], v[14:15], s[40:41], v[134:135] neg_lo:[0,0,1] neg_hi:[0,0,1]
	v_pk_mul_f32 v[108:109], v[8:9], s[38:39]
	s_mov_b32 s14, s35
	s_mov_b32 s15, s26
	v_mov_b32_e32 v19, v27
	v_pk_fma_f32 v[62:63], v[62:63], s[34:35], v[136:137] neg_lo:[1,0,0] neg_hi:[1,0,0]
	v_pk_fma_f32 v[138:139], v[28:29], s[34:35], v[136:137]
	v_pk_mul_f32 v[140:141], v[8:9], s[18:19]
	v_mov_b32_e32 v27, v25
	v_pk_fma_f32 v[24:25], v[28:29], s[34:35], v[136:137] neg_lo:[0,0,1] neg_hi:[0,0,1]
	v_pk_fma_f32 v[116:117], v[102:103], s[36:37], v[108:109] op_sel:[1,0,0] neg_lo:[1,0,0] neg_hi:[1,0,0]
	s_mov_b32 s27, s35
	v_pk_mul_f32 v[120:121], v[10:11], s[14:15]
	v_mov_b32_e32 v63, v139
	v_pk_fma_f32 v[102:103], v[102:103], s[24:25], v[140:141] op_sel:[1,0,0] neg_lo:[1,0,0] neg_hi:[1,0,0]
	v_pk_fma_f32 v[142:143], v[30:31], s[24:25], v[140:141]
	v_pk_mul_f32 v[144:145], v[10:11], s[38:39]
	v_mov_b32_e32 v139, v25
	v_pk_fma_f32 v[24:25], v[30:31], s[24:25], v[140:141] neg_lo:[0,0,1] neg_hi:[0,0,1]
	v_pk_fma_f32 v[122:123], v[98:99], s[26:27], v[120:121] op_sel:[1,0,0] neg_lo:[1,0,0] neg_hi:[1,0,0]
	v_mov_b32_e32 v103, v143
	v_pk_fma_f32 v[98:99], v[98:99], s[36:37], v[144:145] op_sel:[1,0,0] neg_lo:[1,0,0] neg_hi:[1,0,0]
	v_pk_fma_f32 v[146:147], v[32:33], s[36:37], v[144:145]
	v_pk_add_f32 v[62:63], v[0:1], v[62:63]
	v_mov_b32_e32 v143, v25
	v_pk_fma_f32 v[24:25], v[32:33], s[36:37], v[144:145] neg_lo:[0,0,1] neg_hi:[0,0,1]
	v_mov_b32_e32 v99, v147
	v_pk_add_f32 v[62:63], v[102:103], v[62:63]
	s_mov_b32 s38, 0x3f0a6770
	v_mov_b32_e32 v147, v25
	v_pk_add_f32 v[24:25], v[0:1], v[138:139]
	v_pk_add_f32 v[62:63], v[98:99], v[62:63]
	s_mov_b32 s30, s9
	s_mov_b32 s31, s38
	v_pk_add_f32 v[24:25], v[142:143], v[24:25]
	v_pk_add_f32 v[18:19], v[18:19], v[62:63]
	s_mov_b32 s39, s9
	v_pk_mul_f32 v[62:63], v[4:5], s[30:31]
	v_pk_add_f32 v[24:25], v[146:147], v[24:25]
	v_pk_fma_f32 v[98:99], v[104:105], s[38:39], v[62:63] op_sel:[1,0,0] neg_lo:[1,0,0] neg_hi:[1,0,0]
	v_pk_fma_f32 v[102:103], v[12:13], s[38:39], v[62:63]
	v_pk_add_f32 v[24:25], v[26:27], v[24:25]
	v_pk_fma_f32 v[26:27], v[12:13], s[38:39], v[62:63] neg_lo:[0,0,1] neg_hi:[0,0,1]
	v_mov_b32_e32 v99, v103
	v_mov_b32_e32 v103, v27
	v_pk_fma_f32 v[60:61], v[14:15], s[8:9], v[34:35]
	v_pk_add_f32 v[26:27], v[102:103], v[24:25]
	v_pk_fma_f32 v[24:25], v[14:15], s[8:9], v[34:35] neg_lo:[0,0,1] neg_hi:[0,0,1]
	v_mov_b32_e32 v59, v61
	v_mov_b32_e32 v61, v25
	v_pk_mul_f32 v[24:25], v[28:29], s[16:17]
	v_pk_fma_f32 v[118:119], v[30:31], s[36:37], v[108:109]
	v_pk_fma_f32 v[34:35], v[6:7], s[10:11], v[24:25]
	v_pk_fma_f32 v[44:45], v[6:7], s[10:11], v[24:25] neg_lo:[1,0,0] neg_hi:[1,0,0]
	v_pk_fma_f32 v[24:25], v[6:7], s[10:11], v[24:25] neg_lo:[0,0,1] neg_hi:[0,0,1]
	v_mov_b32_e32 v44, v34
	v_mov_b32_e32 v25, v35
	v_pk_fma_f32 v[34:35], v[30:31], s[36:37], v[108:109] neg_lo:[0,0,1] neg_hi:[0,0,1]
	v_mov_b32_e32 v117, v119
	v_pk_add_f32 v[44:45], v[0:1], v[44:45]
	v_mov_b32_e32 v119, v35
	v_pk_fma_f32 v[124:125], v[32:33], s[26:27], v[120:121]
	v_pk_add_f32 v[24:25], v[0:1], v[24:25]
	v_pk_add_f32 v[34:35], v[118:119], v[44:45]
	v_pk_fma_f32 v[44:45], v[32:33], s[26:27], v[120:121] neg_lo:[0,0,1] neg_hi:[0,0,1]
	v_mov_b32_e32 v123, v125
	v_pk_add_f32 v[18:19], v[98:99], v[18:19]
	v_pk_mul_f32 v[98:99], v[4:5], s[18:19]
	v_pk_add_f32 v[24:25], v[116:117], v[24:25]
	v_mov_b32_e32 v125, v45
	v_pk_fma_f32 v[104:105], v[104:105], s[24:25], v[98:99] op_sel:[1,0,0] neg_lo:[1,0,0] neg_hi:[1,0,0]
	v_pk_fma_f32 v[148:149], v[12:13], s[24:25], v[98:99]
	v_pk_add_f32 v[34:35], v[124:125], v[34:35]
	v_pk_add_f32 v[24:25], v[122:123], v[24:25]
	v_pk_fma_f32 v[44:45], v[12:13], s[24:25], v[98:99] neg_lo:[0,0,1] neg_hi:[0,0,1]
	v_pk_mul_f32 v[46:47], v[28:29], s[24:25]
	v_mov_b32_e32 v105, v149
	v_pk_add_f32 v[34:35], v[60:61], v[34:35]
	v_pk_add_f32 v[24:25], v[58:59], v[24:25]
	v_mov_b32_e32 v149, v45
	v_pk_fma_f32 v[58:59], v[6:7], s[18:19], v[46:47]
	v_pk_fma_f32 v[60:61], v[6:7], s[18:19], v[46:47] neg_lo:[1,0,0] neg_hi:[1,0,0]
	v_pk_mul_f32 v[62:63], v[30:31], s[40:41]
	v_pk_add_f32 v[34:35], v[148:149], v[34:35]
	v_pk_add_f32 v[24:25], v[104:105], v[24:25]
	v_mov_b32_e32 v60, v58
	v_pk_fma_f32 v[98:99], v[8:9], s[22:23], v[62:63]
	v_pk_fma_f32 v[102:103], v[8:9], s[22:23], v[62:63] neg_lo:[1,0,0] neg_hi:[1,0,0]
	v_pk_mul_f32 v[104:105], v[32:33], s[8:9]
	ds_write2_b64 v69, v[26:27], v[34:35] offset0:66 offset1:99
	v_pk_mul_f32 v[26:27], v[14:15], s[28:29]
	v_mov_b32_e32 v102, v98
	v_pk_fma_f32 v[106:107], v[10:11], s[2:3], v[104:105]
	v_pk_fma_f32 v[108:109], v[10:11], s[2:3], v[104:105] neg_lo:[1,0,0] neg_hi:[1,0,0]
	v_pk_add_f32 v[60:61], v[0:1], v[60:61]
	v_pk_fma_f32 v[34:35], v[2:3], s[20:21], v[26:27]
	v_pk_fma_f32 v[44:45], v[2:3], s[20:21], v[26:27] neg_lo:[1,0,0] neg_hi:[1,0,0]
	v_mov_b32_e32 v108, v106
	v_pk_add_f32 v[60:61], v[102:103], v[60:61]
	v_mov_b32_e32 v44, v34
	v_pk_add_f32 v[60:61], v[108:109], v[60:61]
	v_pk_mul_f32 v[28:29], v[28:29], s[28:29]
	v_pk_add_f32 v[44:45], v[44:45], v[60:61]
	v_pk_mul_f32 v[60:61], v[12:13], s[26:27]
	v_pk_fma_f32 v[112:113], v[6:7], s[20:21], v[28:29]
	v_pk_fma_f32 v[114:115], v[6:7], s[20:21], v[28:29] neg_lo:[1,0,0] neg_hi:[1,0,0]
	v_pk_mul_f32 v[30:31], v[30:31], s[38:39]
	v_pk_fma_f32 v[28:29], v[6:7], s[20:21], v[28:29] neg_lo:[0,0,1] neg_hi:[0,0,1]
	v_pk_fma_f32 v[6:7], v[6:7], s[18:19], v[46:47] neg_lo:[0,0,1] neg_hi:[0,0,1]
	v_pk_fma_f32 v[102:103], v[4:5], s[14:15], v[60:61]
	v_pk_fma_f32 v[108:109], v[4:5], s[14:15], v[60:61] neg_lo:[1,0,0] neg_hi:[1,0,0]
	v_mov_b32_e32 v114, v112
	v_pk_fma_f32 v[116:117], v[8:9], s[30:31], v[30:31]
	v_pk_fma_f32 v[118:119], v[8:9], s[30:31], v[30:31] neg_lo:[1,0,0] neg_hi:[1,0,0]
	v_pk_mul_f32 v[32:33], v[32:33], s[24:25]
	v_mov_b32_e32 v29, v113
	v_pk_fma_f32 v[30:31], v[8:9], s[30:31], v[30:31] neg_lo:[0,0,1] neg_hi:[0,0,1]
	v_mov_b32_e32 v7, v59
	v_pk_fma_f32 v[8:9], v[8:9], s[22:23], v[62:63] neg_lo:[0,0,1] neg_hi:[0,0,1]
	v_mov_b32_e32 v108, v102
	v_pk_mul_f32 v[14:15], v[14:15], s[26:27]
	v_mov_b32_e32 v118, v116
	v_pk_fma_f32 v[120:121], v[10:11], s[18:19], v[32:33]
	v_pk_fma_f32 v[122:123], v[10:11], s[18:19], v[32:33] neg_lo:[1,0,0] neg_hi:[1,0,0]
	v_pk_add_f32 v[114:115], v[0:1], v[114:115]
	v_pk_fma_f32 v[32:33], v[10:11], s[18:19], v[32:33] neg_lo:[0,0,1] neg_hi:[0,0,1]
	v_pk_add_f32 v[28:29], v[0:1], v[28:29]
	v_mov_b32_e32 v9, v99
	v_pk_fma_f32 v[10:11], v[10:11], s[2:3], v[104:105] neg_lo:[0,0,1] neg_hi:[0,0,1]
	v_pk_add_f32 v[0:1], v[0:1], v[6:7]
	v_pk_add_f32 v[44:45], v[108:109], v[44:45]
	v_pk_fma_f32 v[108:109], v[2:3], s[14:15], v[14:15]
	v_pk_fma_f32 v[110:111], v[2:3], s[14:15], v[14:15] neg_lo:[1,0,0] neg_hi:[1,0,0]
	v_mov_b32_e32 v122, v120
	v_pk_add_f32 v[114:115], v[118:119], v[114:115]
	v_pk_fma_f32 v[14:15], v[2:3], s[14:15], v[14:15] neg_lo:[0,0,1] neg_hi:[0,0,1]
	v_mov_b32_e32 v31, v117
	v_pk_fma_f32 v[2:3], v[2:3], s[20:21], v[26:27] neg_lo:[0,0,1] neg_hi:[0,0,1]
	v_mov_b32_e32 v11, v107
	v_pk_add_f32 v[0:1], v[8:9], v[0:1]
	v_mov_b32_e32 v110, v108
	v_pk_add_f32 v[114:115], v[122:123], v[114:115]
	v_pk_mul_f32 v[12:13], v[12:13], s[16:17]
	v_mov_b32_e32 v33, v121
	v_pk_add_f32 v[28:29], v[30:31], v[28:29]
	v_mov_b32_e32 v3, v35
	v_pk_add_f32 v[0:1], v[10:11], v[0:1]
	v_pk_add_f32 v[110:111], v[110:111], v[114:115]
	v_pk_fma_f32 v[114:115], v[4:5], s[10:11], v[12:13]
	v_pk_fma_f32 v[118:119], v[4:5], s[10:11], v[12:13] neg_lo:[1,0,0] neg_hi:[1,0,0]
	v_mov_b32_e32 v15, v109
	v_pk_add_f32 v[28:29], v[32:33], v[28:29]
	v_pk_fma_f32 v[12:13], v[4:5], s[10:11], v[12:13] neg_lo:[0,0,1] neg_hi:[0,0,1]
	v_pk_add_f32 v[0:1], v[2:3], v[0:1]
	v_pk_fma_f32 v[2:3], v[4:5], s[14:15], v[60:61] neg_lo:[0,0,1] neg_hi:[0,0,1]
	v_pk_add_f32 v[14:15], v[14:15], v[28:29]
	v_mov_b32_e32 v13, v115
	v_mov_b32_e32 v3, v103
	;; [unrolled: 1-line block ×3, first 2 shown]
	v_pk_add_f32 v[12:13], v[12:13], v[14:15]
	v_pk_add_f32 v[0:1], v[2:3], v[0:1]
	;; [unrolled: 1-line block ×3, first 2 shown]
	ds_write2_b64 v69, v[12:13], v[0:1] offset0:198 offset1:231
	v_add_u32_e32 v0, 0x800, v69
	v_add_u32_e32 v4, 0x1400, v64
	ds_write2_b64 v69, v[44:45], v[110:111] offset0:132 offset1:165
	ds_write2_b64 v0, v[24:25], v[18:19] offset0:8 offset1:41
	ds_write_b64 v69, v[16:17] offset:2640
	s_waitcnt lgkmcnt(0)
	s_barrier
	ds_read2_b64 v[0:3], v64 offset1:132
	ds_read2_b64 v[12:15], v42 offset0:107 offset1:239
	ds_read2_b64 v[8:11], v4 offset0:86 offset1:218
	;; [unrolled: 1-line block ×3, first 2 shown]
	v_mov_b32_e32 v56, v36
	v_mov_b32_e32 v57, v36
	;; [unrolled: 1-line block ×16, first 2 shown]
	s_and_saveexec_b64 s[2:3], s[0:1]
	s_cbranch_execz .LBB0_15
; %bb.14:
	ds_read_b64 v[24:25], v64 offset:2112
	ds_read_b64 v[18:19], v64 offset:5016
	;; [unrolled: 1-line block ×4, first 2 shown]
.LBB0_15:
	s_or_b64 exec, exec, s[2:3]
	s_waitcnt lgkmcnt(2)
	v_pk_mul_f32 v[28:29], v[36:37], v[12:13]
	s_waitcnt lgkmcnt(1)
	v_pk_mul_f32 v[30:31], v[38:39], v[8:9]
	v_pk_mul_f32 v[34:35], v[40:41], v[14:15]
	v_pk_fma_f32 v[40:41], v[56:57], v[12:13], v[28:29] op_sel:[0,0,1] op_sel_hi:[1,1,0]
	v_pk_fma_f32 v[12:13], v[56:57], v[12:13], v[28:29] op_sel:[0,0,1] op_sel_hi:[1,1,0] neg_lo:[0,0,1] neg_hi:[0,0,1]
	s_waitcnt lgkmcnt(0)
	v_pk_mul_f32 v[32:33], v[94:95], v[4:5]
	v_mov_b32_e32 v41, v13
	v_pk_fma_f32 v[12:13], v[54:55], v[8:9], v[30:31] op_sel:[0,0,1] op_sel_hi:[1,1,0]
	v_pk_fma_f32 v[8:9], v[54:55], v[8:9], v[30:31] op_sel:[0,0,1] op_sel_hi:[1,1,0] neg_lo:[0,0,1] neg_hi:[0,0,1]
	v_pk_mul_f32 v[36:37], v[42:43], v[10:11]
	v_mov_b32_e32 v13, v9
	v_pk_fma_f32 v[8:9], v[52:53], v[4:5], v[32:33] op_sel:[0,0,1] op_sel_hi:[1,1,0]
	v_pk_fma_f32 v[4:5], v[52:53], v[4:5], v[32:33] op_sel:[0,0,1] op_sel_hi:[1,1,0] neg_lo:[0,0,1] neg_hi:[0,0,1]
	v_pk_mul_f32 v[38:39], v[96:97], v[6:7]
	v_mov_b32_e32 v9, v5
	v_pk_add_f32 v[4:5], v[0:1], v[12:13] neg_lo:[0,1] neg_hi:[0,1]
	v_pk_add_f32 v[8:9], v[40:41], v[8:9] neg_lo:[0,1] neg_hi:[0,1]
	v_pk_fma_f32 v[0:1], v[0:1], 2.0, v[4:5] op_sel_hi:[1,0,1] neg_lo:[0,0,1] neg_hi:[0,0,1]
	v_pk_fma_f32 v[12:13], v[40:41], 2.0, v[8:9] op_sel_hi:[1,0,1] neg_lo:[0,0,1] neg_hi:[0,0,1]
	v_pk_add_f32 v[28:29], v[4:5], v[8:9] op_sel:[0,1] op_sel_hi:[1,0]
	v_pk_add_f32 v[8:9], v[4:5], v[8:9] op_sel:[0,1] op_sel_hi:[1,0] neg_lo:[0,1] neg_hi:[0,1]
	v_pk_add_f32 v[12:13], v[0:1], v[12:13] neg_lo:[0,1] neg_hi:[0,1]
	v_mov_b32_e32 v29, v9
	v_pk_fma_f32 v[4:5], v[4:5], 2.0, v[28:29] op_sel_hi:[1,0,1] neg_lo:[0,0,1] neg_hi:[0,0,1]
	ds_write_b64 v64, v[4:5] offset:2904
	ds_write_b64 v64, v[12:13] offset:5808
	;; [unrolled: 1-line block ×3, first 2 shown]
	v_pk_fma_f32 v[4:5], v[50:51], v[14:15], v[34:35] op_sel:[0,0,1] op_sel_hi:[1,1,0]
	v_pk_fma_f32 v[8:9], v[50:51], v[14:15], v[34:35] op_sel:[0,0,1] op_sel_hi:[1,1,0] neg_lo:[0,0,1] neg_hi:[0,0,1]
	v_pk_fma_f32 v[0:1], v[0:1], 2.0, v[12:13] op_sel_hi:[1,0,1] neg_lo:[0,0,1] neg_hi:[0,0,1]
	v_mov_b32_e32 v5, v9
	v_pk_fma_f32 v[8:9], v[48:49], v[10:11], v[36:37] op_sel:[0,0,1] op_sel_hi:[1,1,0]
	v_pk_fma_f32 v[10:11], v[48:49], v[10:11], v[36:37] op_sel:[0,0,1] op_sel_hi:[1,1,0] neg_lo:[0,0,1] neg_hi:[0,0,1]
	s_nop 0
	v_mov_b32_e32 v9, v11
	v_pk_fma_f32 v[10:11], v[26:27], v[6:7], v[38:39] op_sel:[0,0,1] op_sel_hi:[1,1,0]
	v_pk_fma_f32 v[6:7], v[26:27], v[6:7], v[38:39] op_sel:[0,0,1] op_sel_hi:[1,1,0] neg_lo:[0,0,1] neg_hi:[0,0,1]
	s_nop 0
	v_mov_b32_e32 v11, v7
	v_pk_add_f32 v[6:7], v[2:3], v[8:9] neg_lo:[0,1] neg_hi:[0,1]
	v_pk_add_f32 v[8:9], v[4:5], v[10:11] neg_lo:[0,1] neg_hi:[0,1]
	v_pk_fma_f32 v[2:3], v[2:3], 2.0, v[6:7] op_sel_hi:[1,0,1] neg_lo:[0,0,1] neg_hi:[0,0,1]
	v_pk_fma_f32 v[4:5], v[4:5], 2.0, v[8:9] op_sel_hi:[1,0,1] neg_lo:[0,0,1] neg_hi:[0,0,1]
	s_nop 0
	v_pk_add_f32 v[4:5], v[2:3], v[4:5] neg_lo:[0,1] neg_hi:[0,1]
	s_nop 0
	v_pk_fma_f32 v[2:3], v[2:3], 2.0, v[4:5] op_sel_hi:[1,0,1] neg_lo:[0,0,1] neg_hi:[0,0,1]
	ds_write2_b64 v64, v[0:1], v[2:3] offset1:132
	v_pk_add_f32 v[0:1], v[6:7], v[8:9] op_sel:[0,1] op_sel_hi:[1,0]
	v_pk_add_f32 v[2:3], v[6:7], v[8:9] op_sel:[0,1] op_sel_hi:[1,0] neg_lo:[0,1] neg_hi:[0,1]
	s_nop 0
	v_mov_b32_e32 v1, v3
	v_pk_fma_f32 v[2:3], v[6:7], 2.0, v[0:1] op_sel_hi:[1,0,1] neg_lo:[0,0,1] neg_hi:[0,0,1]
	ds_write_b64 v64, v[2:3] offset:3960
	ds_write_b64 v64, v[4:5] offset:6864
	;; [unrolled: 1-line block ×3, first 2 shown]
	s_and_saveexec_b64 s[2:3], s[0:1]
	s_cbranch_execz .LBB0_17
; %bb.16:
	v_pk_mul_f32 v[0:1], v[22:23], v[16:17] op_sel:[0,1]
	v_pk_mul_f32 v[2:3], v[20:21], v[18:19] op_sel:[0,1]
	v_pk_fma_f32 v[6:7], v[22:23], v[16:17], v[0:1] op_sel:[0,0,1] op_sel_hi:[1,1,0]
	v_pk_fma_f32 v[0:1], v[22:23], v[16:17], v[0:1] op_sel:[0,0,1] op_sel_hi:[1,0,0] neg_lo:[1,0,0] neg_hi:[1,0,0]
	v_mov_b32_e32 v4, v101
	v_mov_b32_e32 v7, v1
	v_pk_mul_f32 v[4:5], v[92:93], v[4:5] op_sel_hi:[1,0]
	v_pk_add_f32 v[0:1], v[24:25], v[6:7] neg_lo:[0,1] neg_hi:[0,1]
	v_pk_fma_f32 v[6:7], v[20:21], v[18:19], v[2:3] op_sel:[0,0,1] op_sel_hi:[1,1,0]
	v_pk_fma_f32 v[2:3], v[20:21], v[18:19], v[2:3] op_sel:[0,0,1] op_sel_hi:[1,0,0] neg_lo:[1,0,0] neg_hi:[1,0,0]
	s_nop 0
	v_mov_b32_e32 v7, v3
	v_pk_fma_f32 v[2:3], v[92:93], v[100:101], v[4:5] op_sel:[0,0,1] op_sel_hi:[1,1,0]
	v_pk_fma_f32 v[4:5], v[92:93], v[100:101], v[4:5] op_sel:[0,0,1] op_sel_hi:[1,0,0] neg_lo:[1,0,0] neg_hi:[1,0,0]
	s_nop 0
	v_mov_b32_e32 v3, v5
	v_pk_add_f32 v[2:3], v[6:7], v[2:3] neg_lo:[0,1] neg_hi:[0,1]
	v_pk_fma_f32 v[4:5], v[24:25], 2.0, v[0:1] op_sel_hi:[1,0,1] neg_lo:[0,0,1] neg_hi:[0,0,1]
	v_pk_fma_f32 v[6:7], v[6:7], 2.0, v[2:3] op_sel_hi:[1,0,1] neg_lo:[0,0,1] neg_hi:[0,0,1]
	s_nop 0
	v_pk_add_f32 v[6:7], v[4:5], v[6:7] neg_lo:[0,1] neg_hi:[0,1]
	s_nop 0
	v_pk_fma_f32 v[4:5], v[4:5], 2.0, v[6:7] op_sel_hi:[1,0,1] neg_lo:[0,0,1] neg_hi:[0,0,1]
	ds_write_b64 v64, v[4:5] offset:2112
	v_pk_add_f32 v[4:5], v[0:1], v[2:3] op_sel:[0,1] op_sel_hi:[1,0]
	v_pk_add_f32 v[2:3], v[0:1], v[2:3] op_sel:[0,1] op_sel_hi:[1,0] neg_lo:[0,1] neg_hi:[0,1]
	s_nop 0
	v_mov_b32_e32 v5, v3
	v_pk_fma_f32 v[0:1], v[0:1], 2.0, v[4:5] op_sel_hi:[1,0,1] neg_lo:[0,0,1] neg_hi:[0,0,1]
	ds_write_b64 v64, v[0:1] offset:5016
	ds_write_b64 v64, v[6:7] offset:7920
	;; [unrolled: 1-line block ×3, first 2 shown]
.LBB0_17:
	s_or_b64 exec, exec, s[2:3]
	s_waitcnt lgkmcnt(0)
	s_barrier
	ds_read2_b64 v[0:3], v64 offset1:132
	v_mad_u64_u32 v[6:7], s[0:1], s6, v76, 0
	v_mov_b32_e32 v8, v7
	v_mad_u64_u32 v[8:9], s[0:1], s7, v76, v[8:9]
	v_mov_b32_e32 v7, v8
	s_waitcnt lgkmcnt(0)
	v_mul_f32_e32 v8, v91, v1
	v_fmac_f32_e32 v8, v90, v0
	v_mul_f32_e32 v0, v91, v0
	s_mov_b32 s0, 0x3a88d0c0
	v_fma_f32 v0, v90, v1, -v0
	v_cvt_f64_f32_e32 v[8:9], v8
	s_mov_b32 s1, 0x3f469147
	v_cvt_f64_f32_e32 v[0:1], v0
	v_mul_f64 v[8:9], v[8:9], s[0:1]
	v_mul_f64 v[0:1], v[0:1], s[0:1]
	v_cvt_f32_f64_e32 v8, v[8:9]
	v_cvt_f32_f64_e32 v9, v[0:1]
	v_mad_u64_u32 v[0:1], s[2:3], s4, v68, 0
	v_mov_b32_e32 v10, v1
	v_mov_b32_e32 v4, s12
	;; [unrolled: 1-line block ×3, first 2 shown]
	v_mad_u64_u32 v[10:11], s[2:3], s5, v68, v[10:11]
	v_mov_b32_e32 v1, v10
	v_lshl_add_u64 v[4:5], v[6:7], 3, v[4:5]
	v_lshl_add_u64 v[4:5], v[0:1], 3, v[4:5]
	v_mul_f32_e32 v0, v89, v3
	v_fmac_f32_e32 v0, v88, v2
	v_cvt_f64_f32_e32 v[0:1], v0
	v_mul_f64 v[0:1], v[0:1], s[0:1]
	v_cvt_f32_f64_e32 v6, v[0:1]
	v_mul_f32_e32 v0, v89, v2
	v_fma_f32 v0, v88, v3, -v0
	v_cvt_f64_f32_e32 v[0:1], v0
	v_mul_f64 v[0:1], v[0:1], s[0:1]
	v_cvt_f32_f64_e32 v7, v[0:1]
	v_add_u32_e32 v0, 0x800, v64
	ds_read2_b64 v[0:3], v0 offset0:8 offset1:140
	global_store_dwordx2 v[4:5], v[8:9], off
	v_mov_b32_e32 v8, 0x420
	v_mad_u64_u32 v[4:5], s[2:3], s4, v8, v[4:5]
	s_mulk_i32 s5, 0x420
	v_add_u32_e32 v5, s5, v5
	global_store_dwordx2 v[4:5], v[6:7], off
	s_waitcnt lgkmcnt(0)
	v_mul_f32_e32 v6, v85, v1
	v_fmac_f32_e32 v6, v84, v0
	v_mul_f32_e32 v0, v85, v0
	v_fma_f32 v0, v84, v1, -v0
	v_cvt_f64_f32_e32 v[6:7], v6
	v_cvt_f64_f32_e32 v[0:1], v0
	v_mul_f64 v[6:7], v[6:7], s[0:1]
	v_mul_f64 v[0:1], v[0:1], s[0:1]
	v_cvt_f32_f64_e32 v6, v[6:7]
	v_cvt_f32_f64_e32 v7, v[0:1]
	v_mul_f32_e32 v0, v79, v3
	v_fmac_f32_e32 v0, v78, v2
	v_mad_u64_u32 v[4:5], s[2:3], s4, v8, v[4:5]
	v_cvt_f64_f32_e32 v[0:1], v0
	v_add_u32_e32 v5, s5, v5
	v_mul_f64 v[0:1], v[0:1], s[0:1]
	global_store_dwordx2 v[4:5], v[6:7], off
	v_cvt_f32_f64_e32 v6, v[0:1]
	v_mul_f32_e32 v0, v79, v2
	v_fma_f32 v0, v78, v3, -v0
	v_cvt_f64_f32_e32 v[0:1], v0
	v_mul_f64 v[0:1], v[0:1], s[0:1]
	v_cvt_f32_f64_e32 v7, v[0:1]
	v_add_u32_e32 v0, 0x1000, v64
	ds_read2_b64 v[0:3], v0 offset0:16 offset1:148
	v_mad_u64_u32 v[4:5], s[2:3], s4, v8, v[4:5]
	v_add_u32_e32 v5, s5, v5
	global_store_dwordx2 v[4:5], v[6:7], off
	s_waitcnt lgkmcnt(0)
	v_mul_f32_e32 v6, v87, v1
	v_fmac_f32_e32 v6, v86, v0
	v_mul_f32_e32 v0, v87, v0
	v_fma_f32 v0, v86, v1, -v0
	v_cvt_f64_f32_e32 v[6:7], v6
	v_cvt_f64_f32_e32 v[0:1], v0
	v_mul_f64 v[6:7], v[6:7], s[0:1]
	v_mul_f64 v[0:1], v[0:1], s[0:1]
	v_cvt_f32_f64_e32 v6, v[6:7]
	v_cvt_f32_f64_e32 v7, v[0:1]
	v_mul_f32_e32 v0, v83, v3
	v_fmac_f32_e32 v0, v82, v2
	v_mad_u64_u32 v[4:5], s[2:3], s4, v8, v[4:5]
	v_cvt_f64_f32_e32 v[0:1], v0
	v_add_u32_e32 v5, s5, v5
	v_mul_f64 v[0:1], v[0:1], s[0:1]
	global_store_dwordx2 v[4:5], v[6:7], off
	v_cvt_f32_f64_e32 v6, v[0:1]
	v_mul_f32_e32 v0, v83, v2
	v_fma_f32 v0, v82, v3, -v0
	v_cvt_f64_f32_e32 v[0:1], v0
	v_mul_f64 v[0:1], v[0:1], s[0:1]
	v_cvt_f32_f64_e32 v7, v[0:1]
	v_add_u32_e32 v0, 0x1800, v64
	ds_read2_b64 v[0:3], v0 offset0:24 offset1:156
	v_mad_u64_u32 v[4:5], s[2:3], s4, v8, v[4:5]
	;; [unrolled: 29-line block ×3, first 2 shown]
	v_add_u32_e32 v5, s5, v5
	global_store_dwordx2 v[4:5], v[6:7], off
	s_waitcnt lgkmcnt(0)
	v_mul_f32_e32 v6, v73, v1
	v_fmac_f32_e32 v6, v72, v0
	v_mul_f32_e32 v0, v73, v0
	v_fma_f32 v0, v72, v1, -v0
	v_cvt_f64_f32_e32 v[6:7], v6
	v_cvt_f64_f32_e32 v[0:1], v0
	v_mul_f64 v[6:7], v[6:7], s[0:1]
	v_mul_f64 v[0:1], v[0:1], s[0:1]
	v_cvt_f32_f64_e32 v6, v[6:7]
	v_cvt_f32_f64_e32 v7, v[0:1]
	v_mad_u64_u32 v[0:1], s[2:3], s4, v8, v[4:5]
	v_mul_f32_e32 v4, v71, v3
	v_fmac_f32_e32 v4, v70, v2
	v_mul_f32_e32 v2, v71, v2
	v_fma_f32 v2, v70, v3, -v2
	v_cvt_f64_f32_e32 v[4:5], v4
	v_cvt_f64_f32_e32 v[2:3], v2
	v_mul_f64 v[4:5], v[4:5], s[0:1]
	v_mul_f64 v[2:3], v[2:3], s[0:1]
	v_cvt_f32_f64_e32 v4, v[4:5]
	v_cvt_f32_f64_e32 v5, v[2:3]
	ds_read_b64 v[2:3], v64 offset:10560
	v_add_u32_e32 v1, s5, v1
	global_store_dwordx2 v[0:1], v[6:7], off
	v_mad_u64_u32 v[0:1], s[2:3], s4, v8, v[0:1]
	v_add_u32_e32 v1, s5, v1
	global_store_dwordx2 v[0:1], v[4:5], off
	s_waitcnt lgkmcnt(0)
	v_mul_f32_e32 v4, v67, v3
	v_fmac_f32_e32 v4, v66, v2
	v_mul_f32_e32 v2, v67, v2
	v_fma_f32 v2, v66, v3, -v2
	v_cvt_f64_f32_e32 v[4:5], v4
	v_cvt_f64_f32_e32 v[2:3], v2
	v_mul_f64 v[4:5], v[4:5], s[0:1]
	v_mul_f64 v[2:3], v[2:3], s[0:1]
	v_mad_u64_u32 v[0:1], s[0:1], s4, v8, v[0:1]
	v_cvt_f32_f64_e32 v4, v[4:5]
	v_cvt_f32_f64_e32 v5, v[2:3]
	v_add_u32_e32 v1, s5, v1
	global_store_dwordx2 v[0:1], v[4:5], off
.LBB0_18:
	s_endpgm
	.section	.rodata,"a",@progbits
	.p2align	6, 0x0
	.amdhsa_kernel bluestein_single_fwd_len1452_dim1_sp_op_CI_CI
		.amdhsa_group_segment_fixed_size 11616
		.amdhsa_private_segment_fixed_size 0
		.amdhsa_kernarg_size 104
		.amdhsa_user_sgpr_count 2
		.amdhsa_user_sgpr_dispatch_ptr 0
		.amdhsa_user_sgpr_queue_ptr 0
		.amdhsa_user_sgpr_kernarg_segment_ptr 1
		.amdhsa_user_sgpr_dispatch_id 0
		.amdhsa_user_sgpr_kernarg_preload_length 0
		.amdhsa_user_sgpr_kernarg_preload_offset 0
		.amdhsa_user_sgpr_private_segment_size 0
		.amdhsa_uses_dynamic_stack 0
		.amdhsa_enable_private_segment 0
		.amdhsa_system_sgpr_workgroup_id_x 1
		.amdhsa_system_sgpr_workgroup_id_y 0
		.amdhsa_system_sgpr_workgroup_id_z 0
		.amdhsa_system_sgpr_workgroup_info 0
		.amdhsa_system_vgpr_workitem_id 0
		.amdhsa_next_free_vgpr 204
		.amdhsa_next_free_sgpr 42
		.amdhsa_accum_offset 204
		.amdhsa_reserve_vcc 1
		.amdhsa_float_round_mode_32 0
		.amdhsa_float_round_mode_16_64 0
		.amdhsa_float_denorm_mode_32 3
		.amdhsa_float_denorm_mode_16_64 3
		.amdhsa_dx10_clamp 1
		.amdhsa_ieee_mode 1
		.amdhsa_fp16_overflow 0
		.amdhsa_tg_split 0
		.amdhsa_exception_fp_ieee_invalid_op 0
		.amdhsa_exception_fp_denorm_src 0
		.amdhsa_exception_fp_ieee_div_zero 0
		.amdhsa_exception_fp_ieee_overflow 0
		.amdhsa_exception_fp_ieee_underflow 0
		.amdhsa_exception_fp_ieee_inexact 0
		.amdhsa_exception_int_div_zero 0
	.end_amdhsa_kernel
	.text
.Lfunc_end0:
	.size	bluestein_single_fwd_len1452_dim1_sp_op_CI_CI, .Lfunc_end0-bluestein_single_fwd_len1452_dim1_sp_op_CI_CI
                                        ; -- End function
	.section	.AMDGPU.csdata,"",@progbits
; Kernel info:
; codeLenInByte = 14156
; NumSgprs: 48
; NumVgprs: 204
; NumAgprs: 0
; TotalNumVgprs: 204
; ScratchSize: 0
; MemoryBound: 0
; FloatMode: 240
; IeeeMode: 1
; LDSByteSize: 11616 bytes/workgroup (compile time only)
; SGPRBlocks: 5
; VGPRBlocks: 25
; NumSGPRsForWavesPerEU: 48
; NumVGPRsForWavesPerEU: 204
; AccumOffset: 204
; Occupancy: 2
; WaveLimiterHint : 1
; COMPUTE_PGM_RSRC2:SCRATCH_EN: 0
; COMPUTE_PGM_RSRC2:USER_SGPR: 2
; COMPUTE_PGM_RSRC2:TRAP_HANDLER: 0
; COMPUTE_PGM_RSRC2:TGID_X_EN: 1
; COMPUTE_PGM_RSRC2:TGID_Y_EN: 0
; COMPUTE_PGM_RSRC2:TGID_Z_EN: 0
; COMPUTE_PGM_RSRC2:TIDIG_COMP_CNT: 0
; COMPUTE_PGM_RSRC3_GFX90A:ACCUM_OFFSET: 50
; COMPUTE_PGM_RSRC3_GFX90A:TG_SPLIT: 0
	.text
	.p2alignl 6, 3212836864
	.fill 256, 4, 3212836864
	.type	__hip_cuid_ef4cea2ced1cad11,@object ; @__hip_cuid_ef4cea2ced1cad11
	.section	.bss,"aw",@nobits
	.globl	__hip_cuid_ef4cea2ced1cad11
__hip_cuid_ef4cea2ced1cad11:
	.byte	0                               ; 0x0
	.size	__hip_cuid_ef4cea2ced1cad11, 1

	.ident	"AMD clang version 19.0.0git (https://github.com/RadeonOpenCompute/llvm-project roc-6.4.0 25133 c7fe45cf4b819c5991fe208aaa96edf142730f1d)"
	.section	".note.GNU-stack","",@progbits
	.addrsig
	.addrsig_sym __hip_cuid_ef4cea2ced1cad11
	.amdgpu_metadata
---
amdhsa.kernels:
  - .agpr_count:     0
    .args:
      - .actual_access:  read_only
        .address_space:  global
        .offset:         0
        .size:           8
        .value_kind:     global_buffer
      - .actual_access:  read_only
        .address_space:  global
        .offset:         8
        .size:           8
        .value_kind:     global_buffer
      - .actual_access:  read_only
        .address_space:  global
        .offset:         16
        .size:           8
        .value_kind:     global_buffer
      - .actual_access:  read_only
        .address_space:  global
        .offset:         24
        .size:           8
        .value_kind:     global_buffer
      - .actual_access:  read_only
        .address_space:  global
        .offset:         32
        .size:           8
        .value_kind:     global_buffer
      - .offset:         40
        .size:           8
        .value_kind:     by_value
      - .address_space:  global
        .offset:         48
        .size:           8
        .value_kind:     global_buffer
      - .address_space:  global
        .offset:         56
        .size:           8
        .value_kind:     global_buffer
      - .address_space:  global
        .offset:         64
        .size:           8
        .value_kind:     global_buffer
      - .address_space:  global
        .offset:         72
        .size:           8
        .value_kind:     global_buffer
      - .offset:         80
        .size:           4
        .value_kind:     by_value
      - .address_space:  global
        .offset:         88
        .size:           8
        .value_kind:     global_buffer
      - .address_space:  global
        .offset:         96
        .size:           8
        .value_kind:     global_buffer
    .group_segment_fixed_size: 11616
    .kernarg_segment_align: 8
    .kernarg_segment_size: 104
    .language:       OpenCL C
    .language_version:
      - 2
      - 0
    .max_flat_workgroup_size: 132
    .name:           bluestein_single_fwd_len1452_dim1_sp_op_CI_CI
    .private_segment_fixed_size: 0
    .sgpr_count:     48
    .sgpr_spill_count: 0
    .symbol:         bluestein_single_fwd_len1452_dim1_sp_op_CI_CI.kd
    .uniform_work_group_size: 1
    .uses_dynamic_stack: false
    .vgpr_count:     204
    .vgpr_spill_count: 0
    .wavefront_size: 64
amdhsa.target:   amdgcn-amd-amdhsa--gfx950
amdhsa.version:
  - 1
  - 2
...

	.end_amdgpu_metadata
